;; amdgpu-corpus repo=zjin-lcf/HeCBench kind=compiled arch=gfx1250 opt=O3
	.amdgcn_target "amdgcn-amd-amdhsa--gfx1250"
	.amdhsa_code_object_version 6
	.text
	.protected	_Z5task1PdS_ii          ; -- Begin function _Z5task1PdS_ii
	.globl	_Z5task1PdS_ii
	.p2align	8
	.type	_Z5task1PdS_ii,@function
_Z5task1PdS_ii:                         ; @_Z5task1PdS_ii
; %bb.0:
	s_clause 0x2
	s_load_b128 s[4:7], s[0:1], 0x8
	s_load_b32 s3, s[0:1], 0x18
	s_load_b32 s8, s[0:1], 0x24
	s_bfe_u32 s2, ttmp6, 0x4000c
	s_and_b32 s9, ttmp6, 15
	s_add_co_i32 s10, s2, 1
	s_getreg_b32 s2, hwreg(HW_REG_IB_STS2, 6, 4)
	s_mul_i32 s10, ttmp9, s10
	v_and_b32_e32 v1, 0x3ff, v0
	s_add_co_i32 s9, s9, s10
	s_wait_kmcnt 0x0
	s_load_b64 s[12:13], s[4:5], 0x10
	s_mul_i32 s3, s3, s6
	s_and_b32 s6, s8, 0xffff
	s_cmp_eq_u32 s2, 0
	s_cselect_b32 s8, ttmp9, s9
	s_delay_alu instid0(SALU_CYCLE_1) | instskip(NEXT) | instid1(SALU_CYCLE_1)
	s_add_co_i32 s3, s3, s8
	v_mad_u32 v78, s3, s6, v1
	s_mov_b32 s3, exec_lo
	s_delay_alu instid0(VALU_DEP_1) | instskip(SKIP_1) | instid1(VALU_DEP_1)
	v_cvt_f64_u32_e32 v[2:3], v78
	s_wait_kmcnt 0x0
	v_cmpx_nle_f64_e32 s[12:13], v[2:3]
	s_cbranch_execz .LBB0_148
; %bb.1:
	s_add_nc_u64 s[8:9], s[0:1], 24
	v_bfe_u32 v0, v0, 10, 10
	s_clause 0x1
	s_load_b32 s3, s[8:9], 0x4
	s_load_u16 s6, s[8:9], 0xe
	s_wait_xcnt 0x0
	s_bfe_u32 s8, ttmp6, 0x40010
	s_bfe_u32 s9, ttmp6, 0x40004
	s_add_co_i32 s8, s8, 1
	s_delay_alu instid0(SALU_CYCLE_1) | instskip(NEXT) | instid1(SALU_CYCLE_1)
	s_mul_i32 s8, ttmp7, s8
	s_add_co_i32 s9, s9, s8
	s_cmp_eq_u32 s2, 0
	s_wait_kmcnt 0x0
	s_mul_i32 s2, s3, s7
	s_cselect_b32 s3, ttmp7, s9
	s_delay_alu instid0(SALU_CYCLE_1) | instskip(NEXT) | instid1(SALU_CYCLE_1)
	s_add_co_i32 s2, s2, s3
	v_mad_u32 v79, s2, s6, v0
	s_delay_alu instid0(VALU_DEP_1) | instskip(NEXT) | instid1(VALU_DEP_1)
	v_cvt_f64_u32_e32 v[0:1], v79
	v_cmp_nle_f64_e32 vcc_lo, s[12:13], v[0:1]
	s_and_b32 exec_lo, exec_lo, vcc_lo
	s_cbranch_execz .LBB0_148
; %bb.2:
	s_load_b128 s[8:11], s[4:5], 0x0
	s_mov_b64 s[2:3], 0x3f91df46a1fae712
	s_wait_kmcnt 0x0
	v_mul_f64_e64 v[4:5], s[10:11], s[2:3]
	s_delay_alu instid0(VALU_DEP_1) | instskip(NEXT) | instid1(VALU_DEP_2)
	v_readfirstlane_b32 s6, v4
	v_readfirstlane_b32 s7, v5
	v_cmp_ngt_f64_e64 s10, 0x41d00000, |v[4:5]|
	s_delay_alu instid0(VALU_DEP_2)
	v_trig_preop_f64 v[12:13], |s[6:7]|, 0
	v_trig_preop_f64 v[10:11], |s[6:7]|, 1
	v_cmp_le_f64_e64 s2, 0x7b000000, |s[6:7]|
	v_ldexp_f64 v[28:29], |s[6:7]|, 0xffffff80
	v_trig_preop_f64 v[8:9], |s[6:7]|, 2
	s_and_b32 vcc_lo, exec_lo, s10
	s_cbranch_vccz .LBB0_4
; %bb.3:
	s_and_b32 s3, s7, 0x7fffffff
	s_delay_alu instid0(VALU_DEP_2) | instskip(NEXT) | instid1(VALU_DEP_3)
	v_cndmask_b32_e64 v4, s6, v28, s2
	v_cndmask_b32_e64 v5, s3, v29, s2
	s_mov_b32 s2, 0
	s_mov_b64 s[4:5], 0x3ff921fb54442d18
	s_delay_alu instid0(VALU_DEP_1) | instskip(SKIP_1) | instid1(VALU_DEP_2)
	v_mul_f64_e32 v[6:7], v[12:13], v[4:5]
	v_mul_f64_e32 v[14:15], v[10:11], v[4:5]
	v_fma_f64 v[16:17], v[12:13], v[4:5], -v[6:7]
	s_delay_alu instid0(VALU_DEP_1) | instskip(NEXT) | instid1(VALU_DEP_1)
	v_add_f64_e32 v[18:19], v[14:15], v[16:17]
	v_add_f64_e64 v[20:21], v[18:19], -v[14:15]
	v_add_f64_e32 v[24:25], v[6:7], v[18:19]
	v_fma_f64 v[30:31], v[10:11], v[4:5], -v[14:15]
	v_mul_f64_e32 v[26:27], v[8:9], v[4:5]
	s_delay_alu instid0(VALU_DEP_4) | instskip(SKIP_4) | instid1(VALU_DEP_3)
	v_add_f64_e64 v[22:23], v[18:19], -v[20:21]
	v_add_f64_e64 v[16:17], v[16:17], -v[20:21]
	v_ldexp_f64 v[20:21], v[24:25], -2
	v_add_f64_e64 v[6:7], v[24:25], -v[6:7]
	v_fma_f64 v[4:5], v[8:9], v[4:5], -v[26:27]
	v_cmp_neq_f64_e64 vcc_lo, 0x7ff00000, |v[20:21]|
	v_add_f64_e64 v[14:15], v[14:15], -v[22:23]
	s_delay_alu instid0(VALU_DEP_4) | instskip(NEXT) | instid1(VALU_DEP_2)
	v_add_f64_e64 v[6:7], v[18:19], -v[6:7]
	v_add_f64_e32 v[14:15], v[16:17], v[14:15]
	v_fract_f64_e32 v[16:17], v[20:21]
	s_delay_alu instid0(VALU_DEP_1) | instskip(NEXT) | instid1(VALU_DEP_1)
	v_ldexp_f64 v[16:17], v[16:17], 2
	v_dual_add_f64 v[22:23], v[26:27], v[30:31] :: v_dual_cndmask_b32 v16, 0, v16, vcc_lo
	s_delay_alu instid0(VALU_DEP_1) | instskip(NEXT) | instid1(VALU_DEP_1)
	v_dual_add_f64 v[18:19], v[22:23], v[14:15] :: v_dual_cndmask_b32 v17, 0, v17, vcc_lo
	v_add_f64_e32 v[20:21], v[6:7], v[18:19]
	v_add_f64_e64 v[32:33], v[18:19], -v[22:23]
	s_delay_alu instid0(VALU_DEP_2) | instskip(NEXT) | instid1(VALU_DEP_2)
	v_add_f64_e32 v[24:25], v[20:21], v[16:17]
	v_add_f64_e64 v[38:39], v[18:19], -v[32:33]
	v_add_f64_e64 v[14:15], v[14:15], -v[32:33]
	;; [unrolled: 1-line block ×3, first 2 shown]
	s_delay_alu instid0(VALU_DEP_4) | instskip(SKIP_1) | instid1(VALU_DEP_3)
	v_cmp_gt_f64_e32 vcc_lo, 0, v[24:25]
	v_add_f64_e64 v[24:25], v[22:23], -v[26:27]
	v_add_f64_e64 v[6:7], v[18:19], -v[6:7]
	s_and_b32 s3, vcc_lo, exec_lo
	s_cselect_b32 s3, 0x40100000, 0
	s_delay_alu instid0(VALU_DEP_2) | instskip(SKIP_3) | instid1(VALU_DEP_4)
	v_add_f64_e64 v[36:37], v[22:23], -v[24:25]
	v_add_f64_e32 v[16:17], s[2:3], v[16:17]
	v_add_f64_e64 v[24:25], v[30:31], -v[24:25]
	v_add_f64_e64 v[22:23], v[22:23], -v[38:39]
	;; [unrolled: 1-line block ×3, first 2 shown]
	s_delay_alu instid0(VALU_DEP_4) | instskip(NEXT) | instid1(VALU_DEP_3)
	v_add_f64_e32 v[34:35], v[20:21], v[16:17]
	v_add_f64_e32 v[14:15], v[14:15], v[22:23]
	s_delay_alu instid0(VALU_DEP_3) | instskip(NEXT) | instid1(VALU_DEP_3)
	v_add_f64_e32 v[24:25], v[24:25], v[30:31]
	v_cvt_i32_f64_e32 v34, v[34:35]
	s_delay_alu instid0(VALU_DEP_2) | instskip(NEXT) | instid1(VALU_DEP_2)
	v_add_f64_e32 v[14:15], v[24:25], v[14:15]
	v_cvt_f64_i32_e32 v[32:33], v34
	s_delay_alu instid0(VALU_DEP_2) | instskip(NEXT) | instid1(VALU_DEP_2)
	v_add_f64_e32 v[4:5], v[4:5], v[14:15]
	v_add_f64_e64 v[16:17], v[16:17], -v[32:33]
	s_delay_alu instid0(VALU_DEP_2) | instskip(NEXT) | instid1(VALU_DEP_2)
	v_add_f64_e32 v[4:5], v[6:7], v[4:5]
	v_add_f64_e32 v[22:23], v[20:21], v[16:17]
	s_delay_alu instid0(VALU_DEP_1) | instskip(SKIP_1) | instid1(VALU_DEP_2)
	v_add_f64_e64 v[14:15], v[22:23], -v[16:17]
	v_cmp_le_f64_e32 vcc_lo, 0.5, v[22:23]
	v_add_f64_e64 v[6:7], v[20:21], -v[14:15]
	s_and_b32 s3, vcc_lo, exec_lo
	s_cselect_b32 s3, 0x3ff00000, 0
	v_add_co_ci_u32_e64 v36, null, 0, v34, vcc_lo
	s_delay_alu instid0(VALU_DEP_2) | instskip(SKIP_1) | instid1(VALU_DEP_1)
	v_add_f64_e32 v[4:5], v[4:5], v[6:7]
	v_add_f64_e64 v[6:7], v[22:23], -s[2:3]
	v_add_f64_e32 v[14:15], v[6:7], v[4:5]
	s_delay_alu instid0(VALU_DEP_1) | instskip(SKIP_1) | instid1(VALU_DEP_2)
	v_mul_f64_e32 v[16:17], 0x3ff921fb54442d18, v[14:15]
	v_add_f64_e64 v[6:7], v[14:15], -v[6:7]
	v_fma_f64 v[18:19], v[14:15], s[4:5], -v[16:17]
	s_delay_alu instid0(VALU_DEP_2) | instskip(NEXT) | instid1(VALU_DEP_2)
	v_add_f64_e64 v[4:5], v[4:5], -v[6:7]
	v_fmamk_f64 v[6:7], v[14:15], 0x3c91a62633145c07, v[18:19]
	s_delay_alu instid0(VALU_DEP_1) | instskip(NEXT) | instid1(VALU_DEP_1)
	v_fmac_f64_e32 v[6:7], 0x3ff921fb54442d18, v[4:5]
	v_add_f64_e32 v[4:5], v[16:17], v[6:7]
	s_delay_alu instid0(VALU_DEP_1) | instskip(NEXT) | instid1(VALU_DEP_1)
	v_add_f64_e64 v[14:15], v[4:5], -v[16:17]
	v_add_f64_e64 v[6:7], v[6:7], -v[14:15]
	s_cbranch_execz .LBB0_5
	s_branch .LBB0_6
.LBB0_4:
                                        ; implicit-def: $vgpr36
                                        ; implicit-def: $vgpr4_vgpr5
                                        ; implicit-def: $vgpr6_vgpr7
.LBB0_5:
	s_mov_b64 s[2:3], 0x3fe45f306dc9c883
	s_delay_alu instid0(SALU_CYCLE_1) | instskip(SKIP_1) | instid1(VALU_DEP_1)
	v_mul_f64_e64 v[4:5], |s[6:7]|, s[2:3]
	s_mov_b64 s[2:3], 0xbff921fb54442d18
	v_rndne_f64_e32 v[14:15], v[4:5]
	s_delay_alu instid0(VALU_DEP_1) | instskip(SKIP_2) | instid1(VALU_DEP_3)
	v_fma_f64 v[4:5], v[14:15], s[2:3], |s[6:7]|
	v_mul_f64_e32 v[6:7], 0xbc91a62633145c00, v[14:15]
	v_cvt_i32_f64_e32 v36, v[14:15]
	v_fmamk_f64 v[20:21], v[14:15], 0xbc91a62633145c00, v[4:5]
	s_delay_alu instid0(VALU_DEP_3) | instskip(NEXT) | instid1(VALU_DEP_1)
	v_add_f64_e32 v[16:17], v[4:5], v[6:7]
	v_add_f64_e64 v[18:19], v[4:5], -v[16:17]
	s_delay_alu instid0(VALU_DEP_3) | instskip(NEXT) | instid1(VALU_DEP_2)
	v_add_f64_e64 v[4:5], v[16:17], -v[20:21]
	v_add_f64_e32 v[16:17], v[18:19], v[6:7]
	v_fmamk_f64 v[6:7], v[14:15], 0x3c91a62633145c00, v[6:7]
	s_delay_alu instid0(VALU_DEP_2) | instskip(NEXT) | instid1(VALU_DEP_1)
	v_add_f64_e32 v[4:5], v[4:5], v[16:17]
	v_add_f64_e64 v[4:5], v[4:5], -v[6:7]
	s_delay_alu instid0(VALU_DEP_1) | instskip(NEXT) | instid1(VALU_DEP_1)
	v_fmamk_f64 v[6:7], v[14:15], 0xb97b839a252049c0, v[4:5]
	v_add_f64_e32 v[4:5], v[20:21], v[6:7]
	s_delay_alu instid0(VALU_DEP_1) | instskip(NEXT) | instid1(VALU_DEP_1)
	v_add_f64_e64 v[16:17], v[4:5], -v[20:21]
	v_add_f64_e64 v[6:7], v[6:7], -v[16:17]
.LBB0_6:
	s_and_b32 vcc_lo, exec_lo, s10
	s_cbranch_vccz .LBB0_8
; %bb.7:
	v_cmp_le_f64_e64 vcc_lo, 0x7b000000, |s[6:7]|
	s_and_b32 s2, s7, 0x7fffffff
	s_mov_b64 s[4:5], 0x3ff921fb54442d18
	v_cndmask_b32_e32 v15, s2, v29, vcc_lo
	v_cndmask_b32_e32 v14, s6, v28, vcc_lo
	s_mov_b32 s2, 0
	s_delay_alu instid0(VALU_DEP_1) | instskip(SKIP_1) | instid1(VALU_DEP_2)
	v_mul_f64_e32 v[16:17], v[12:13], v[14:15]
	v_mul_f64_e32 v[18:19], v[10:11], v[14:15]
	v_fma_f64 v[20:21], v[12:13], v[14:15], -v[16:17]
	s_delay_alu instid0(VALU_DEP_1) | instskip(NEXT) | instid1(VALU_DEP_1)
	v_add_f64_e32 v[22:23], v[18:19], v[20:21]
	v_add_f64_e64 v[24:25], v[22:23], -v[18:19]
	v_add_f64_e32 v[30:31], v[16:17], v[22:23]
	v_fma_f64 v[34:35], v[10:11], v[14:15], -v[18:19]
	v_mul_f64_e32 v[32:33], v[8:9], v[14:15]
	s_delay_alu instid0(VALU_DEP_4) | instskip(SKIP_2) | instid1(VALU_DEP_4)
	v_add_f64_e64 v[26:27], v[22:23], -v[24:25]
	v_add_f64_e64 v[20:21], v[20:21], -v[24:25]
	v_ldexp_f64 v[24:25], v[30:31], -2
	v_fma_f64 v[14:15], v[8:9], v[14:15], -v[32:33]
	s_delay_alu instid0(VALU_DEP_4) | instskip(SKIP_1) | instid1(VALU_DEP_4)
	v_add_f64_e64 v[18:19], v[18:19], -v[26:27]
	v_add_f64_e32 v[26:27], v[32:33], v[34:35]
	v_cmp_neq_f64_e64 vcc_lo, 0x7ff00000, |v[24:25]|
	s_delay_alu instid0(VALU_DEP_3) | instskip(SKIP_1) | instid1(VALU_DEP_1)
	v_add_f64_e32 v[18:19], v[20:21], v[18:19]
	v_fract_f64_e32 v[20:21], v[24:25]
	v_ldexp_f64 v[20:21], v[20:21], 2
	s_delay_alu instid0(VALU_DEP_1) | instskip(SKIP_1) | instid1(VALU_DEP_3)
	v_cndmask_b32_e32 v21, 0, v21, vcc_lo
	v_add_f64_e64 v[16:17], v[30:31], -v[16:17]
	v_cndmask_b32_e32 v20, 0, v20, vcc_lo
	s_delay_alu instid0(VALU_DEP_2) | instskip(SKIP_1) | instid1(VALU_DEP_1)
	v_add_f64_e64 v[16:17], v[22:23], -v[16:17]
	v_add_f64_e32 v[22:23], v[26:27], v[18:19]
	v_add_f64_e32 v[24:25], v[16:17], v[22:23]
	v_add_f64_e64 v[38:39], v[22:23], -v[26:27]
	s_delay_alu instid0(VALU_DEP_2) | instskip(NEXT) | instid1(VALU_DEP_2)
	v_add_f64_e32 v[30:31], v[24:25], v[20:21]
	v_add_f64_e64 v[44:45], v[22:23], -v[38:39]
	v_add_f64_e64 v[18:19], v[18:19], -v[38:39]
	;; [unrolled: 1-line block ×3, first 2 shown]
	s_delay_alu instid0(VALU_DEP_4) | instskip(SKIP_1) | instid1(VALU_DEP_3)
	v_cmp_gt_f64_e32 vcc_lo, 0, v[30:31]
	v_add_f64_e64 v[30:31], v[26:27], -v[32:33]
	v_add_f64_e64 v[16:17], v[22:23], -v[16:17]
	s_and_b32 s3, vcc_lo, exec_lo
	s_cselect_b32 s3, 0x40100000, 0
	s_delay_alu instid0(VALU_DEP_2) | instskip(SKIP_3) | instid1(VALU_DEP_4)
	v_add_f64_e64 v[42:43], v[26:27], -v[30:31]
	v_add_f64_e32 v[20:21], s[2:3], v[20:21]
	v_add_f64_e64 v[30:31], v[34:35], -v[30:31]
	v_add_f64_e64 v[26:27], v[26:27], -v[44:45]
	;; [unrolled: 1-line block ×3, first 2 shown]
	s_delay_alu instid0(VALU_DEP_4) | instskip(NEXT) | instid1(VALU_DEP_3)
	v_add_f64_e32 v[40:41], v[24:25], v[20:21]
	v_add_f64_e32 v[18:19], v[18:19], v[26:27]
	s_delay_alu instid0(VALU_DEP_3) | instskip(NEXT) | instid1(VALU_DEP_3)
	v_add_f64_e32 v[30:31], v[30:31], v[34:35]
	v_cvt_i32_f64_e32 v37, v[40:41]
	s_delay_alu instid0(VALU_DEP_2) | instskip(NEXT) | instid1(VALU_DEP_2)
	v_add_f64_e32 v[18:19], v[30:31], v[18:19]
	v_cvt_f64_i32_e32 v[38:39], v37
	s_delay_alu instid0(VALU_DEP_2) | instskip(NEXT) | instid1(VALU_DEP_2)
	v_add_f64_e32 v[14:15], v[14:15], v[18:19]
	v_add_f64_e64 v[20:21], v[20:21], -v[38:39]
	s_delay_alu instid0(VALU_DEP_2) | instskip(NEXT) | instid1(VALU_DEP_2)
	v_add_f64_e32 v[14:15], v[16:17], v[14:15]
	v_add_f64_e32 v[26:27], v[24:25], v[20:21]
	s_delay_alu instid0(VALU_DEP_1) | instskip(SKIP_1) | instid1(VALU_DEP_2)
	v_add_f64_e64 v[18:19], v[26:27], -v[20:21]
	v_cmp_le_f64_e32 vcc_lo, 0.5, v[26:27]
	v_add_f64_e64 v[16:17], v[24:25], -v[18:19]
	s_and_b32 s3, vcc_lo, exec_lo
	s_cselect_b32 s3, 0x3ff00000, 0
	v_add_co_ci_u32_e64 v37, null, 0, v37, vcc_lo
	s_delay_alu instid0(VALU_DEP_2) | instskip(SKIP_1) | instid1(VALU_DEP_1)
	v_add_f64_e32 v[14:15], v[14:15], v[16:17]
	v_add_f64_e64 v[16:17], v[26:27], -s[2:3]
	v_add_f64_e32 v[18:19], v[16:17], v[14:15]
	s_delay_alu instid0(VALU_DEP_1) | instskip(SKIP_1) | instid1(VALU_DEP_2)
	v_mul_f64_e32 v[20:21], 0x3ff921fb54442d18, v[18:19]
	v_add_f64_e64 v[16:17], v[18:19], -v[16:17]
	v_fma_f64 v[22:23], v[18:19], s[4:5], -v[20:21]
	s_delay_alu instid0(VALU_DEP_2) | instskip(NEXT) | instid1(VALU_DEP_2)
	v_add_f64_e64 v[14:15], v[14:15], -v[16:17]
	v_fmamk_f64 v[16:17], v[18:19], 0x3c91a62633145c07, v[22:23]
	s_delay_alu instid0(VALU_DEP_1) | instskip(NEXT) | instid1(VALU_DEP_1)
	v_fmac_f64_e32 v[16:17], 0x3ff921fb54442d18, v[14:15]
	v_add_f64_e32 v[14:15], v[20:21], v[16:17]
	s_delay_alu instid0(VALU_DEP_1) | instskip(NEXT) | instid1(VALU_DEP_1)
	v_add_f64_e64 v[18:19], v[14:15], -v[20:21]
	v_add_f64_e64 v[16:17], v[16:17], -v[18:19]
	s_cbranch_execz .LBB0_9
	s_branch .LBB0_10
.LBB0_8:
                                        ; implicit-def: $vgpr37
                                        ; implicit-def: $vgpr14_vgpr15
                                        ; implicit-def: $vgpr16_vgpr17
.LBB0_9:
	s_mov_b64 s[2:3], 0x3fe45f306dc9c883
	s_delay_alu instid0(SALU_CYCLE_1) | instskip(SKIP_1) | instid1(VALU_DEP_1)
	v_mul_f64_e64 v[14:15], |s[6:7]|, s[2:3]
	s_mov_b64 s[2:3], 0xbff921fb54442d18
	v_rndne_f64_e32 v[18:19], v[14:15]
	s_delay_alu instid0(VALU_DEP_1) | instskip(SKIP_2) | instid1(VALU_DEP_3)
	v_fma_f64 v[14:15], v[18:19], s[2:3], |s[6:7]|
	v_mul_f64_e32 v[16:17], 0xbc91a62633145c00, v[18:19]
	v_cvt_i32_f64_e32 v37, v[18:19]
	v_fmamk_f64 v[24:25], v[18:19], 0xbc91a62633145c00, v[14:15]
	s_delay_alu instid0(VALU_DEP_3) | instskip(NEXT) | instid1(VALU_DEP_1)
	v_add_f64_e32 v[20:21], v[14:15], v[16:17]
	v_add_f64_e64 v[22:23], v[14:15], -v[20:21]
	s_delay_alu instid0(VALU_DEP_3) | instskip(NEXT) | instid1(VALU_DEP_2)
	v_add_f64_e64 v[14:15], v[20:21], -v[24:25]
	v_add_f64_e32 v[20:21], v[22:23], v[16:17]
	v_fmamk_f64 v[16:17], v[18:19], 0x3c91a62633145c00, v[16:17]
	s_delay_alu instid0(VALU_DEP_2) | instskip(NEXT) | instid1(VALU_DEP_1)
	v_add_f64_e32 v[14:15], v[14:15], v[20:21]
	v_add_f64_e64 v[14:15], v[14:15], -v[16:17]
	s_delay_alu instid0(VALU_DEP_1) | instskip(NEXT) | instid1(VALU_DEP_1)
	v_fmamk_f64 v[16:17], v[18:19], 0xb97b839a252049c0, v[14:15]
	v_add_f64_e32 v[14:15], v[24:25], v[16:17]
	s_delay_alu instid0(VALU_DEP_1) | instskip(NEXT) | instid1(VALU_DEP_1)
	v_add_f64_e64 v[20:21], v[14:15], -v[24:25]
	v_add_f64_e64 v[16:17], v[16:17], -v[20:21]
.LBB0_10:
	s_and_b32 vcc_lo, exec_lo, s10
	s_cbranch_vccz .LBB0_12
; %bb.11:
	v_cmp_le_f64_e64 vcc_lo, 0x7b000000, |s[6:7]|
	s_and_b32 s2, s7, 0x7fffffff
	s_mov_b64 s[4:5], 0x3ff921fb54442d18
	v_cndmask_b32_e32 v19, s2, v29, vcc_lo
	v_cndmask_b32_e32 v18, s6, v28, vcc_lo
	s_mov_b32 s2, 0
	s_delay_alu instid0(VALU_DEP_1) | instskip(SKIP_1) | instid1(VALU_DEP_2)
	v_mul_f64_e32 v[20:21], v[12:13], v[18:19]
	v_mul_f64_e32 v[22:23], v[10:11], v[18:19]
	v_fma_f64 v[24:25], v[12:13], v[18:19], -v[20:21]
	s_delay_alu instid0(VALU_DEP_1) | instskip(NEXT) | instid1(VALU_DEP_1)
	v_add_f64_e32 v[26:27], v[22:23], v[24:25]
	v_add_f64_e64 v[30:31], v[26:27], -v[22:23]
	v_add_f64_e32 v[34:35], v[20:21], v[26:27]
	s_delay_alu instid0(VALU_DEP_2) | instskip(SKIP_2) | instid1(VALU_DEP_4)
	v_add_f64_e64 v[32:33], v[26:27], -v[30:31]
	v_fma_f64 v[40:41], v[10:11], v[18:19], -v[22:23]
	v_add_f64_e64 v[24:25], v[24:25], -v[30:31]
	v_ldexp_f64 v[30:31], v[34:35], -2
	v_mul_f64_e32 v[38:39], v[8:9], v[18:19]
	v_add_f64_e64 v[22:23], v[22:23], -v[32:33]
	s_delay_alu instid0(VALU_DEP_3) | instskip(NEXT) | instid1(VALU_DEP_3)
	v_cmp_neq_f64_e64 vcc_lo, 0x7ff00000, |v[30:31]|
	v_add_f64_e32 v[32:33], v[38:39], v[40:41]
	v_fma_f64 v[18:19], v[8:9], v[18:19], -v[38:39]
	s_delay_alu instid0(VALU_DEP_4) | instskip(SKIP_1) | instid1(VALU_DEP_1)
	v_add_f64_e32 v[22:23], v[24:25], v[22:23]
	v_fract_f64_e32 v[24:25], v[30:31]
	v_ldexp_f64 v[24:25], v[24:25], 2
	s_delay_alu instid0(VALU_DEP_1) | instskip(SKIP_1) | instid1(VALU_DEP_3)
	v_cndmask_b32_e32 v25, 0, v25, vcc_lo
	v_add_f64_e64 v[20:21], v[34:35], -v[20:21]
	v_cndmask_b32_e32 v24, 0, v24, vcc_lo
	s_delay_alu instid0(VALU_DEP_2) | instskip(SKIP_1) | instid1(VALU_DEP_1)
	v_add_f64_e64 v[20:21], v[26:27], -v[20:21]
	v_add_f64_e32 v[26:27], v[32:33], v[22:23]
	v_add_f64_e32 v[30:31], v[20:21], v[26:27]
	v_add_f64_e64 v[42:43], v[26:27], -v[32:33]
	s_delay_alu instid0(VALU_DEP_2) | instskip(NEXT) | instid1(VALU_DEP_2)
	v_add_f64_e32 v[34:35], v[30:31], v[24:25]
	v_add_f64_e64 v[48:49], v[26:27], -v[42:43]
	v_add_f64_e64 v[22:23], v[22:23], -v[42:43]
	;; [unrolled: 1-line block ×3, first 2 shown]
	s_delay_alu instid0(VALU_DEP_4) | instskip(SKIP_1) | instid1(VALU_DEP_3)
	v_cmp_gt_f64_e32 vcc_lo, 0, v[34:35]
	v_add_f64_e64 v[34:35], v[32:33], -v[38:39]
	v_add_f64_e64 v[20:21], v[26:27], -v[20:21]
	s_and_b32 s3, vcc_lo, exec_lo
	s_cselect_b32 s3, 0x40100000, 0
	s_delay_alu instid0(VALU_DEP_2) | instskip(SKIP_3) | instid1(VALU_DEP_4)
	v_add_f64_e64 v[46:47], v[32:33], -v[34:35]
	v_add_f64_e32 v[24:25], s[2:3], v[24:25]
	v_add_f64_e64 v[34:35], v[40:41], -v[34:35]
	v_add_f64_e64 v[32:33], v[32:33], -v[48:49]
	;; [unrolled: 1-line block ×3, first 2 shown]
	s_delay_alu instid0(VALU_DEP_4) | instskip(NEXT) | instid1(VALU_DEP_3)
	v_add_f64_e32 v[44:45], v[30:31], v[24:25]
	v_add_f64_e32 v[22:23], v[22:23], v[32:33]
	s_delay_alu instid0(VALU_DEP_3) | instskip(NEXT) | instid1(VALU_DEP_3)
	v_add_f64_e32 v[34:35], v[34:35], v[40:41]
	v_cvt_i32_f64_e32 v44, v[44:45]
	s_delay_alu instid0(VALU_DEP_2) | instskip(NEXT) | instid1(VALU_DEP_2)
	v_add_f64_e32 v[22:23], v[34:35], v[22:23]
	v_cvt_f64_i32_e32 v[42:43], v44
	s_delay_alu instid0(VALU_DEP_2) | instskip(NEXT) | instid1(VALU_DEP_2)
	v_add_f64_e32 v[18:19], v[18:19], v[22:23]
	v_add_f64_e64 v[24:25], v[24:25], -v[42:43]
	s_delay_alu instid0(VALU_DEP_2) | instskip(NEXT) | instid1(VALU_DEP_2)
	v_add_f64_e32 v[18:19], v[20:21], v[18:19]
	v_add_f64_e32 v[32:33], v[30:31], v[24:25]
	s_delay_alu instid0(VALU_DEP_1) | instskip(SKIP_1) | instid1(VALU_DEP_2)
	v_add_f64_e64 v[22:23], v[32:33], -v[24:25]
	v_cmp_le_f64_e32 vcc_lo, 0.5, v[32:33]
	v_add_f64_e64 v[20:21], v[30:31], -v[22:23]
	s_and_b32 s3, vcc_lo, exec_lo
	s_cselect_b32 s3, 0x3ff00000, 0
	v_add_co_ci_u32_e64 v38, null, 0, v44, vcc_lo
	s_delay_alu instid0(VALU_DEP_2) | instskip(SKIP_1) | instid1(VALU_DEP_1)
	v_add_f64_e32 v[18:19], v[18:19], v[20:21]
	v_add_f64_e64 v[20:21], v[32:33], -s[2:3]
	v_add_f64_e32 v[22:23], v[20:21], v[18:19]
	s_delay_alu instid0(VALU_DEP_1) | instskip(SKIP_1) | instid1(VALU_DEP_2)
	v_mul_f64_e32 v[24:25], 0x3ff921fb54442d18, v[22:23]
	v_add_f64_e64 v[20:21], v[22:23], -v[20:21]
	v_fma_f64 v[26:27], v[22:23], s[4:5], -v[24:25]
	s_delay_alu instid0(VALU_DEP_2) | instskip(NEXT) | instid1(VALU_DEP_2)
	v_add_f64_e64 v[18:19], v[18:19], -v[20:21]
	v_fmamk_f64 v[20:21], v[22:23], 0x3c91a62633145c07, v[26:27]
	s_delay_alu instid0(VALU_DEP_1) | instskip(NEXT) | instid1(VALU_DEP_1)
	v_fmac_f64_e32 v[20:21], 0x3ff921fb54442d18, v[18:19]
	v_add_f64_e32 v[18:19], v[24:25], v[20:21]
	s_delay_alu instid0(VALU_DEP_1) | instskip(NEXT) | instid1(VALU_DEP_1)
	v_add_f64_e64 v[22:23], v[18:19], -v[24:25]
	v_add_f64_e64 v[20:21], v[20:21], -v[22:23]
	s_cbranch_execz .LBB0_13
	s_branch .LBB0_14
.LBB0_12:
                                        ; implicit-def: $vgpr38
                                        ; implicit-def: $vgpr18_vgpr19
                                        ; implicit-def: $vgpr20_vgpr21
.LBB0_13:
	s_mov_b64 s[2:3], 0x3fe45f306dc9c883
	s_delay_alu instid0(SALU_CYCLE_1) | instskip(SKIP_1) | instid1(VALU_DEP_1)
	v_mul_f64_e64 v[18:19], |s[6:7]|, s[2:3]
	s_mov_b64 s[2:3], 0xbff921fb54442d18
	v_rndne_f64_e32 v[22:23], v[18:19]
	s_delay_alu instid0(VALU_DEP_1) | instskip(SKIP_2) | instid1(VALU_DEP_3)
	v_fma_f64 v[18:19], v[22:23], s[2:3], |s[6:7]|
	v_mul_f64_e32 v[20:21], 0xbc91a62633145c00, v[22:23]
	v_cvt_i32_f64_e32 v38, v[22:23]
	v_fmamk_f64 v[30:31], v[22:23], 0xbc91a62633145c00, v[18:19]
	s_delay_alu instid0(VALU_DEP_3) | instskip(NEXT) | instid1(VALU_DEP_1)
	v_add_f64_e32 v[24:25], v[18:19], v[20:21]
	v_add_f64_e64 v[26:27], v[18:19], -v[24:25]
	s_delay_alu instid0(VALU_DEP_3) | instskip(NEXT) | instid1(VALU_DEP_2)
	v_add_f64_e64 v[18:19], v[24:25], -v[30:31]
	v_add_f64_e32 v[24:25], v[26:27], v[20:21]
	v_fmamk_f64 v[20:21], v[22:23], 0x3c91a62633145c00, v[20:21]
	s_delay_alu instid0(VALU_DEP_2) | instskip(NEXT) | instid1(VALU_DEP_1)
	v_add_f64_e32 v[18:19], v[18:19], v[24:25]
	v_add_f64_e64 v[18:19], v[18:19], -v[20:21]
	s_delay_alu instid0(VALU_DEP_1) | instskip(NEXT) | instid1(VALU_DEP_1)
	v_fmamk_f64 v[20:21], v[22:23], 0xb97b839a252049c0, v[18:19]
	v_add_f64_e32 v[18:19], v[30:31], v[20:21]
	s_delay_alu instid0(VALU_DEP_1) | instskip(NEXT) | instid1(VALU_DEP_1)
	v_add_f64_e64 v[24:25], v[18:19], -v[30:31]
	v_add_f64_e64 v[20:21], v[20:21], -v[24:25]
.LBB0_14:
	s_and_b32 vcc_lo, exec_lo, s10
	s_cbranch_vccz .LBB0_16
; %bb.15:
	v_cmp_le_f64_e64 vcc_lo, 0x7b000000, |s[6:7]|
	s_and_b32 s2, s7, 0x7fffffff
	s_mov_b64 s[4:5], 0x3ff921fb54442d18
	v_cndmask_b32_e32 v23, s2, v29, vcc_lo
	v_cndmask_b32_e32 v22, s6, v28, vcc_lo
	s_mov_b32 s2, 0
	s_delay_alu instid0(VALU_DEP_1) | instskip(SKIP_1) | instid1(VALU_DEP_2)
	v_mul_f64_e32 v[24:25], v[12:13], v[22:23]
	v_mul_f64_e32 v[26:27], v[10:11], v[22:23]
	v_fma_f64 v[30:31], v[12:13], v[22:23], -v[24:25]
	s_delay_alu instid0(VALU_DEP_1) | instskip(NEXT) | instid1(VALU_DEP_1)
	v_add_f64_e32 v[32:33], v[26:27], v[30:31]
	v_add_f64_e64 v[34:35], v[32:33], -v[26:27]
	v_add_f64_e32 v[42:43], v[24:25], v[32:33]
	v_fma_f64 v[46:47], v[10:11], v[22:23], -v[26:27]
	v_mul_f64_e32 v[44:45], v[8:9], v[22:23]
	s_delay_alu instid0(VALU_DEP_4) | instskip(SKIP_2) | instid1(VALU_DEP_4)
	v_add_f64_e64 v[40:41], v[32:33], -v[34:35]
	v_add_f64_e64 v[30:31], v[30:31], -v[34:35]
	v_ldexp_f64 v[34:35], v[42:43], -2
	v_fma_f64 v[22:23], v[8:9], v[22:23], -v[44:45]
	s_delay_alu instid0(VALU_DEP_2) | instskip(SKIP_2) | instid1(VALU_DEP_2)
	v_cmp_neq_f64_e64 vcc_lo, 0x7ff00000, |v[34:35]|
	v_add_f64_e64 v[26:27], v[26:27], -v[40:41]
	v_add_f64_e32 v[40:41], v[44:45], v[46:47]
	v_add_f64_e32 v[26:27], v[30:31], v[26:27]
	v_fract_f64_e32 v[30:31], v[34:35]
	s_delay_alu instid0(VALU_DEP_1) | instskip(NEXT) | instid1(VALU_DEP_1)
	v_ldexp_f64 v[30:31], v[30:31], 2
	v_dual_add_f64 v[24:25], v[42:43], -v[24:25] :: v_dual_cndmask_b32 v31, 0, v31, vcc_lo
	s_delay_alu instid0(VALU_DEP_1) | instskip(SKIP_1) | instid1(VALU_DEP_1)
	v_dual_add_f64 v[24:25], v[32:33], -v[24:25] :: v_dual_cndmask_b32 v30, 0, v30, vcc_lo
	v_add_f64_e32 v[32:33], v[40:41], v[26:27]
	v_add_f64_e32 v[34:35], v[24:25], v[32:33]
	v_add_f64_e64 v[48:49], v[32:33], -v[40:41]
	s_delay_alu instid0(VALU_DEP_2) | instskip(NEXT) | instid1(VALU_DEP_2)
	v_add_f64_e32 v[42:43], v[34:35], v[30:31]
	v_add_f64_e64 v[54:55], v[32:33], -v[48:49]
	v_add_f64_e64 v[26:27], v[26:27], -v[48:49]
	;; [unrolled: 1-line block ×3, first 2 shown]
	s_delay_alu instid0(VALU_DEP_4) | instskip(SKIP_1) | instid1(VALU_DEP_3)
	v_cmp_gt_f64_e32 vcc_lo, 0, v[42:43]
	v_add_f64_e64 v[42:43], v[40:41], -v[44:45]
	v_add_f64_e64 v[24:25], v[32:33], -v[24:25]
	s_and_b32 s3, vcc_lo, exec_lo
	s_cselect_b32 s3, 0x40100000, 0
	s_delay_alu instid0(VALU_DEP_2) | instskip(SKIP_3) | instid1(VALU_DEP_4)
	v_add_f64_e64 v[52:53], v[40:41], -v[42:43]
	v_add_f64_e32 v[30:31], s[2:3], v[30:31]
	v_add_f64_e64 v[42:43], v[46:47], -v[42:43]
	v_add_f64_e64 v[40:41], v[40:41], -v[54:55]
	;; [unrolled: 1-line block ×3, first 2 shown]
	s_delay_alu instid0(VALU_DEP_4) | instskip(NEXT) | instid1(VALU_DEP_3)
	v_add_f64_e32 v[50:51], v[34:35], v[30:31]
	v_add_f64_e32 v[26:27], v[26:27], v[40:41]
	s_delay_alu instid0(VALU_DEP_3) | instskip(NEXT) | instid1(VALU_DEP_3)
	v_add_f64_e32 v[42:43], v[42:43], v[46:47]
	v_cvt_i32_f64_e32 v39, v[50:51]
	s_delay_alu instid0(VALU_DEP_2) | instskip(NEXT) | instid1(VALU_DEP_2)
	v_add_f64_e32 v[26:27], v[42:43], v[26:27]
	v_cvt_f64_i32_e32 v[48:49], v39
	s_delay_alu instid0(VALU_DEP_2) | instskip(NEXT) | instid1(VALU_DEP_2)
	v_add_f64_e32 v[22:23], v[22:23], v[26:27]
	v_add_f64_e64 v[30:31], v[30:31], -v[48:49]
	s_delay_alu instid0(VALU_DEP_2) | instskip(NEXT) | instid1(VALU_DEP_2)
	v_add_f64_e32 v[22:23], v[24:25], v[22:23]
	v_add_f64_e32 v[40:41], v[34:35], v[30:31]
	s_delay_alu instid0(VALU_DEP_1) | instskip(SKIP_1) | instid1(VALU_DEP_2)
	v_add_f64_e64 v[26:27], v[40:41], -v[30:31]
	v_cmp_le_f64_e32 vcc_lo, 0.5, v[40:41]
	v_add_f64_e64 v[24:25], v[34:35], -v[26:27]
	s_and_b32 s3, vcc_lo, exec_lo
	s_cselect_b32 s3, 0x3ff00000, 0
	v_add_co_ci_u32_e64 v39, null, 0, v39, vcc_lo
	s_delay_alu instid0(VALU_DEP_2) | instskip(SKIP_1) | instid1(VALU_DEP_1)
	v_add_f64_e32 v[22:23], v[22:23], v[24:25]
	v_add_f64_e64 v[24:25], v[40:41], -s[2:3]
	v_add_f64_e32 v[26:27], v[24:25], v[22:23]
	s_delay_alu instid0(VALU_DEP_1) | instskip(SKIP_1) | instid1(VALU_DEP_2)
	v_mul_f64_e32 v[30:31], 0x3ff921fb54442d18, v[26:27]
	v_add_f64_e64 v[24:25], v[26:27], -v[24:25]
	v_fma_f64 v[32:33], v[26:27], s[4:5], -v[30:31]
	s_delay_alu instid0(VALU_DEP_2) | instskip(NEXT) | instid1(VALU_DEP_2)
	v_add_f64_e64 v[22:23], v[22:23], -v[24:25]
	v_fmamk_f64 v[24:25], v[26:27], 0x3c91a62633145c07, v[32:33]
	s_delay_alu instid0(VALU_DEP_1) | instskip(NEXT) | instid1(VALU_DEP_1)
	v_fmac_f64_e32 v[24:25], 0x3ff921fb54442d18, v[22:23]
	v_add_f64_e32 v[22:23], v[30:31], v[24:25]
	s_delay_alu instid0(VALU_DEP_1) | instskip(NEXT) | instid1(VALU_DEP_1)
	v_add_f64_e64 v[26:27], v[22:23], -v[30:31]
	v_add_f64_e64 v[26:27], v[24:25], -v[26:27]
	s_cbranch_execz .LBB0_17
	s_branch .LBB0_18
.LBB0_16:
                                        ; implicit-def: $vgpr39
                                        ; implicit-def: $vgpr22_vgpr23
                                        ; implicit-def: $vgpr26_vgpr27
.LBB0_17:
	s_mov_b64 s[2:3], 0x3fe45f306dc9c883
	s_delay_alu instid0(SALU_CYCLE_1) | instskip(SKIP_1) | instid1(VALU_DEP_1)
	v_mul_f64_e64 v[22:23], |s[6:7]|, s[2:3]
	s_mov_b64 s[2:3], 0xbff921fb54442d18
	v_rndne_f64_e32 v[24:25], v[22:23]
	s_delay_alu instid0(VALU_DEP_1) | instskip(SKIP_2) | instid1(VALU_DEP_3)
	v_fma_f64 v[22:23], v[24:25], s[2:3], |s[6:7]|
	v_mul_f64_e32 v[26:27], 0xbc91a62633145c00, v[24:25]
	v_cvt_i32_f64_e32 v39, v[24:25]
	v_fmamk_f64 v[34:35], v[24:25], 0xbc91a62633145c00, v[22:23]
	s_delay_alu instid0(VALU_DEP_3) | instskip(NEXT) | instid1(VALU_DEP_1)
	v_add_f64_e32 v[30:31], v[22:23], v[26:27]
	v_add_f64_e64 v[32:33], v[22:23], -v[30:31]
	s_delay_alu instid0(VALU_DEP_3) | instskip(NEXT) | instid1(VALU_DEP_2)
	v_add_f64_e64 v[22:23], v[30:31], -v[34:35]
	v_add_f64_e32 v[30:31], v[32:33], v[26:27]
	v_fmamk_f64 v[26:27], v[24:25], 0x3c91a62633145c00, v[26:27]
	s_delay_alu instid0(VALU_DEP_2) | instskip(NEXT) | instid1(VALU_DEP_1)
	v_add_f64_e32 v[22:23], v[22:23], v[30:31]
	v_add_f64_e64 v[22:23], v[22:23], -v[26:27]
	s_delay_alu instid0(VALU_DEP_1) | instskip(NEXT) | instid1(VALU_DEP_1)
	v_fmamk_f64 v[26:27], v[24:25], 0xb97b839a252049c0, v[22:23]
	v_add_f64_e32 v[22:23], v[34:35], v[26:27]
	s_delay_alu instid0(VALU_DEP_1) | instskip(NEXT) | instid1(VALU_DEP_1)
	v_add_f64_e64 v[30:31], v[22:23], -v[34:35]
	v_add_f64_e64 v[26:27], v[26:27], -v[30:31]
.LBB0_18:
	v_cvt_i32_f64_e32 v24, s[12:13]
	v_mov_b64_e32 v[32:33], s[8:9]
	v_mul_f64_e32 v[42:43], v[18:19], v[18:19]
	v_mul_f64_e32 v[44:45], v[14:15], v[14:15]
	v_mov_b64_e32 v[64:65], 0xbe5ae600b42fdfa7
	v_mul_f64_e32 v[66:67], 0.5, v[20:21]
	v_mul_f64_e32 v[50:51], v[4:5], v[4:5]
	v_mov_b64_e32 v[90:91], 0x3ec71de3796cde01
	v_fmaak_f64 v[32:33], s[8:9], v[32:33], 0x412e8480
	v_add_f64_e32 v[0:1], 1.0, v[0:1]
	v_add_f64_e32 v[2:3], 1.0, v[2:3]
	s_mov_b64 s[12:13], 0x3fedd9ad336a0500
	s_delay_alu instid0(VALU_DEP_3)
	v_cmp_gt_f64_e32 vcc_lo, 0x10000000, v[32:33]
	v_cvt_f64_i32_e32 v[24:25], v24
	v_mul_f64_e64 v[68:69], v[18:19], -v[42:43]
	v_fmamk_f64 v[72:73], v[42:43], 0x3de5e0b2f9a43bb8, v[64:65]
	v_mul_f64_e32 v[52:53], -0.5, v[44:45]
	v_mul_f64_e64 v[80:81], v[14:15], -v[44:45]
	v_fmamk_f64 v[82:83], v[44:45], 0x3de5e0b2f9a43bb8, v[64:65]
	v_mul_f64_e32 v[48:49], -0.5, v[42:43]
	v_mul_f64_e32 v[60:61], -0.5, v[50:51]
	v_fmamk_f64 v[84:85], v[50:51], 0x3de5e0b2f9a43bb8, v[64:65]
	s_delay_alu instid0(VALU_DEP_4) | instskip(SKIP_2) | instid1(VALU_DEP_2)
	v_fmaak_f64 v[82:83], v[44:45], v[82:83], 0x3ec71de3796cde01
	s_and_b32 s2, vcc_lo, exec_lo
	s_cselect_b32 s2, 0x100, 0
	v_fmaak_f64 v[84:85], v[50:51], v[84:85], 0x3ec71de3796cde01
	v_ldexp_f64 v[32:33], v[32:33], s2
	v_cmp_class_f64_e64 s2, s[6:7], 0x1f8
	v_mul_f64_e32 v[58:59], v[22:23], v[22:23]
	s_delay_alu instid0(VALU_DEP_4) | instskip(NEXT) | instid1(VALU_DEP_1)
	v_fmaak_f64 v[84:85], v[50:51], v[84:85], 0xbf2a01a019e83e5c
	v_fmaak_f64 v[84:85], v[50:51], v[84:85], 0x3f81111111110bb3
	v_add_f64_e32 v[24:25], 1.0, v[24:25]
	v_add_f64_e32 v[62:63], 1.0, v[52:53]
	;; [unrolled: 1-line block ×4, first 2 shown]
	v_rsq_f64_e32 v[46:47], v[32:33]
	v_fmac_f64_e32 v[64:65], 0x3de5e0b2f9a43bb8, v[58:59]
	v_div_scale_f64 v[30:31], null, v[24:25], v[24:25], 0x405b8000
	v_div_scale_f64 v[76:77], vcc_lo, 0x405b8000, v[24:25], 0x405b8000
	v_add_f64_e64 v[88:89], -v[62:63], 1.0
	v_add_f64_e64 v[70:71], -v[54:55], 1.0
	;; [unrolled: 1-line block ×3, first 2 shown]
	v_fmac_f64_e32 v[90:91], v[58:59], v[64:65]
	v_mul_f64_e64 v[64:65], v[4:5], -v[50:51]
	v_rcp_f64_e32 v[40:41], v[30:31]
	v_add_f64_e32 v[52:53], v[88:89], v[52:53]
	v_mul_f64_e32 v[88:89], v[42:43], v[42:43]
	v_add_f64_e32 v[48:49], v[70:71], v[48:49]
	v_mov_b64_e32 v[70:71], 0x3e21eeb69037ab78
	v_add_f64_e32 v[60:61], v[100:101], v[60:61]
	s_delay_alu instid0(VALU_DEP_2) | instskip(SKIP_2) | instid1(VALU_DEP_3)
	v_fmamk_f64 v[92:93], v[42:43], 0xbda907db46cc5e42, v[70:71]
	v_fmamk_f64 v[94:95], v[44:45], 0xbda907db46cc5e42, v[70:71]
	;; [unrolled: 1-line block ×3, first 2 shown]
	v_fmaak_f64 v[92:93], v[42:43], v[92:93], 0xbe927e4fa17f65f6
	s_delay_alu instid0(VALU_DEP_3) | instskip(NEXT) | instid1(TRANS32_DEP_1)
	v_fmaak_f64 v[94:95], v[44:45], v[94:95], 0xbe927e4fa17f65f6
	v_fma_f64 v[34:35], -v[30:31], v[40:41], 1.0
	s_delay_alu instid0(VALU_DEP_1) | instskip(NEXT) | instid1(VALU_DEP_1)
	v_fmac_f64_e32 v[40:41], v[40:41], v[34:35]
	v_fma_f64 v[56:57], -v[30:31], v[40:41], 1.0
	s_delay_alu instid0(VALU_DEP_1) | instskip(SKIP_2) | instid1(VALU_DEP_2)
	v_fmac_f64_e32 v[40:41], v[40:41], v[56:57]
	v_fmaak_f64 v[56:57], v[42:43], v[72:73], 0x3ec71de3796cde01
	v_mul_f64_e32 v[72:73], 0.5, v[16:17]
	v_fmaak_f64 v[56:57], v[42:43], v[56:57], 0xbf2a01a019e83e5c
	s_delay_alu instid0(VALU_DEP_1) | instskip(NEXT) | instid1(VALU_DEP_1)
	v_fmaak_f64 v[56:57], v[42:43], v[56:57], 0x3f81111111110bb3
	v_fmac_f64_e32 v[66:67], v[68:69], v[56:57]
	v_fmaak_f64 v[56:57], v[44:45], v[82:83], 0xbf2a01a019e83e5c
	s_delay_alu instid0(VALU_DEP_1) | instskip(SKIP_1) | instid1(VALU_DEP_2)
	v_fmaak_f64 v[56:57], v[44:45], v[56:57], 0x3f81111111110bb3
	v_mul_f64_e32 v[82:83], v[76:77], v[40:41]
	v_fmac_f64_e32 v[72:73], v[80:81], v[56:57]
	v_mul_f64_e32 v[56:57], 0.5, v[6:7]
	v_fma_f64 v[66:67], v[42:43], v[66:67], -v[20:21]
	v_fma_f64 v[20:21], v[18:19], -v[20:21], v[48:49]
	v_fma_f64 v[30:31], -v[30:31], v[82:83], v[76:77]
	v_mov_b64_e32 v[76:77], 0xbf2a01a019e83e5c
	v_fma_f64 v[72:73], v[44:45], v[72:73], -v[16:17]
	v_fma_f64 v[16:17], v[14:15], -v[16:17], v[52:53]
	v_fmac_f64_e32 v[56:57], v[64:65], v[84:85]
	s_delay_alu instid0(VALU_DEP_4)
	v_fmac_f64_e32 v[76:77], v[58:59], v[90:91]
	v_mul_f64_e32 v[90:91], v[44:45], v[44:45]
	v_fmaak_f64 v[52:53], v[44:45], v[94:95], 0x3efa01a019f4ec90
	v_fmac_f64_e32 v[66:67], 0xbfc5555555555555, v[68:69]
	v_div_fmas_f64 v[30:31], v[30:31], v[40:41], v[82:83]
	v_mov_b64_e32 v[40:41], 0x3f81111111110bb3
	v_fmac_f64_e32 v[72:73], 0xbfc5555555555555, v[80:81]
	v_fma_f64 v[56:57], v[50:51], v[56:57], -v[6:7]
	v_fma_f64 v[6:7], v[4:5], -v[6:7], v[60:61]
	s_delay_alu instid0(VALU_DEP_4)
	v_fmac_f64_e32 v[40:41], v[58:59], v[76:77]
	v_fmaak_f64 v[76:77], v[50:51], v[96:97], 0xbe927e4fa17f65f6
	v_mov_b64_e32 v[60:61], 0xbf56c16c16c16967
	v_div_fixup_f64 v[30:31], v[30:31], v[24:25], 0x405b8000
	v_add_f64_e64 v[14:15], v[14:15], -v[72:73]
	v_mul_f64_e32 v[34:35], v[32:33], v[46:47]
	v_fmac_f64_e32 v[56:57], 0xbfc5555555555555, v[64:65]
	s_delay_alu instid0(VALU_DEP_3) | instskip(SKIP_1) | instid1(VALU_DEP_3)
	v_xor_b32_e32 v15, 0x80000000, v15
	v_mul_f64_e32 v[46:47], 0.5, v[46:47]
	v_add_f64_e64 v[4:5], v[4:5], -v[56:57]
	s_delay_alu instid0(VALU_DEP_2) | instskip(NEXT) | instid1(VALU_DEP_1)
	v_fma_f64 v[74:75], -v[46:47], v[34:35], 0.5
	v_fmac_f64_e32 v[34:35], v[34:35], v[74:75]
	v_fmac_f64_e32 v[46:47], v[46:47], v[74:75]
	v_fmaak_f64 v[74:75], v[42:43], v[92:93], 0x3efa01a019f4ec90
	v_mov_b64_e32 v[92:93], 0xbe927e4fa17f65f6
	s_delay_alu instid0(VALU_DEP_2) | instskip(NEXT) | instid1(VALU_DEP_1)
	v_fmaak_f64 v[74:75], v[42:43], v[74:75], 0xbf56c16c16c16967
	v_fmaak_f64 v[42:43], v[42:43], v[74:75], 0x3fa5555555555555
	v_mul_f64_e32 v[74:75], v[50:51], v[50:51]
	s_delay_alu instid0(VALU_DEP_2) | instskip(SKIP_2) | instid1(VALU_DEP_3)
	v_fmac_f64_e32 v[20:21], v[88:89], v[42:43]
	v_mov_b64_e32 v[42:43], 0x3efa01a019f4ec90
	v_fma_f64 v[48:49], -v[34:35], v[34:35], v[32:33]
	v_add_f64_e32 v[20:21], v[54:55], v[20:21]
	s_delay_alu instid0(VALU_DEP_2) | instskip(SKIP_1) | instid1(VALU_DEP_1)
	v_fmac_f64_e32 v[34:35], v[48:49], v[46:47]
	v_fmaak_f64 v[48:49], v[44:45], v[52:53], 0xbf56c16c16c16967
	v_fmaak_f64 v[44:45], v[44:45], v[48:49], 0x3fa5555555555555
	s_delay_alu instid0(VALU_DEP_1) | instskip(SKIP_1) | instid1(VALU_DEP_1)
	v_fmac_f64_e32 v[16:17], v[90:91], v[44:45]
	v_fmaak_f64 v[44:45], v[50:51], v[76:77], 0x3efa01a019f4ec90
	v_fmaak_f64 v[44:45], v[50:51], v[44:45], 0xbf56c16c16c16967
	s_delay_alu instid0(VALU_DEP_1) | instskip(SKIP_1) | instid1(VALU_DEP_2)
	v_fmaak_f64 v[24:25], v[50:51], v[44:45], 0x3fa5555555555555
	v_fma_f64 v[54:55], -v[34:35], v[34:35], v[32:33]
	v_fmac_f64_e32 v[6:7], v[74:75], v[24:25]
	v_and_b32_e32 v24, 1, v38
	s_delay_alu instid0(VALU_DEP_1)
	v_cmp_eq_u32_e32 vcc_lo, 0, v24
	v_add_f64_e64 v[18:19], v[18:19], -v[66:67]
	v_fmaak_f64 v[24:25], v[30:31], v[0:1], 0xc04b8000
	v_add_f64_e32 v[16:17], v[62:63], v[16:17]
	v_fmac_f64_e32 v[34:35], v[54:55], v[46:47]
	v_add_f64_e32 v[6:7], v[86:87], v[6:7]
	v_dual_cndmask_b32 v18, v18, v20, vcc_lo :: v_dual_bitop2_b32 v20, 1, v37 bitop3:0x40
	v_lshlrev_b32_e32 v37, 30, v37
	s_delay_alu instid0(VALU_DEP_2) | instskip(NEXT) | instid1(VALU_DEP_2)
	v_cmp_eq_u32_e64 s3, 0, v20
	v_and_b32_e32 v20, 0x80000000, v37
	s_delay_alu instid0(VALU_DEP_2) | instskip(SKIP_1) | instid1(VALU_DEP_1)
	v_dual_cndmask_b32 v16, v14, v16, s3 :: v_dual_cndmask_b32 v14, v15, v17, s3
	s_cselect_b32 s3, 0xffffff80, 0
	v_cndmask_b32_e64 v16, 0, v16, s2
	v_fmac_f64_e32 v[70:71], 0xbda907db46cc5e42, v[58:59]
	s_delay_alu instid0(VALU_DEP_3)
	v_dual_mul_f64 v[98:99], -0.5, v[58:59] :: v_dual_bitop2_b32 v15, v14, v20 bitop3:0x14
	v_cndmask_b32_e64 v14, 0, v18, s2
	v_ldexp_f64 v[34:35], v[34:35], s3
	v_cmp_class_f64_e64 s3, v[32:33], 0x260
	v_dual_mul_f64 v[52:53], 0.5, v[26:27] :: v_dual_bitop2_b32 v18, 1, v36 bitop3:0x40
	v_mul_f64_e64 v[68:69], v[22:23], -v[58:59]
	v_mul_f64_e32 v[0:1], v[58:59], v[58:59]
	v_cndmask_b32_e64 v17, 0x7ff80000, v15, s2
	v_lshlrev_b32_e32 v15, 30, v36
	v_cmp_eq_u32_e64 s4, 0, v18
	s_delay_alu instid0(VALU_DEP_2) | instskip(SKIP_4) | instid1(VALU_DEP_4)
	v_dual_mul_f64 v[16:17], v[24:25], v[16:17] :: v_dual_bitop2_b32 v15, s7, v15 bitop3:0x14
	v_fmac_f64_e32 v[92:93], v[58:59], v[70:71]
	v_add_f64_e32 v[70:71], 1.0, v[98:99]
	v_fmac_f64_e32 v[52:53], v[68:69], v[40:41]
	v_mov_b64_e32 v[40:41], 0x3fa5555555555555
	v_fmac_f64_e32 v[42:43], v[58:59], v[92:93]
	s_delay_alu instid0(VALU_DEP_4) | instskip(NEXT) | instid1(VALU_DEP_2)
	v_add_f64_e64 v[48:49], -v[70:71], 1.0
	v_fmac_f64_e32 v[60:61], v[58:59], v[42:43]
	s_delay_alu instid0(VALU_DEP_2) | instskip(NEXT) | instid1(VALU_DEP_2)
	v_add_f64_e32 v[42:43], v[48:49], v[98:99]
	v_fmac_f64_e32 v[40:41], v[58:59], v[60:61]
	s_delay_alu instid0(VALU_DEP_2) | instskip(SKIP_1) | instid1(VALU_DEP_2)
	v_fma_f64 v[42:43], v[22:23], -v[26:27], v[42:43]
	v_fma_f64 v[26:27], v[58:59], v[52:53], -v[26:27]
	v_fmac_f64_e32 v[42:43], v[0:1], v[40:41]
	s_delay_alu instid0(VALU_DEP_2) | instskip(SKIP_4) | instid1(VALU_DEP_2)
	v_fmac_f64_e32 v[26:27], 0xbfc5555555555555, v[68:69]
	v_and_b32_e32 v0, 0x80000000, v15
	v_dual_cndmask_b32 v1, v6, v4, s4 :: v_dual_cndmask_b32 v4, v7, v5, s4
	v_dual_cndmask_b32 v5, v35, v33, s3 :: v_dual_bitop2_b32 v15, 1, v39 bitop3:0x40
	s_mov_b64 s[4:5], 0x3fa059859fea6a70
	v_dual_cndmask_b32 v0, 0, v1, s2 :: v_dual_bitop2_b32 v4, v4, v0 bitop3:0x14
	s_delay_alu instid0(VALU_DEP_1) | instskip(SKIP_2) | instid1(VALU_DEP_2)
	v_cndmask_b32_e64 v1, 0x7ff80000, v4, s2
	v_cndmask_b32_e64 v4, v34, v32, s3
	v_cmp_eq_u32_e64 s3, 0, v15
	v_dual_fma_f64 v[6:7], v[4:5], v[0:1], -v[16:17] :: v_dual_lshlrev_b32 v16, 30, v39
	s_delay_alu instid0(VALU_DEP_1) | instskip(NEXT) | instid1(VALU_DEP_1)
	v_xor_b32_e32 v16, s7, v16
	v_and_b32_e32 v15, 0x80000000, v16
	v_add_f64_e32 v[0:1], v[70:71], v[42:43]
	v_add_f64_e64 v[4:5], v[22:23], -v[26:27]
	v_fmaak_f64 v[26:27], v[30:31], v[2:3], 0xc04b8000
	s_delay_alu instid0(VALU_DEP_2) | instskip(NEXT) | instid1(VALU_DEP_3)
	v_dual_mul_f64 v[2:3], v[6:7], v[6:7] :: v_dual_cndmask_b32 v1, v1, v5, s3
	v_dual_cndmask_b32 v0, v0, v4, s3 :: v_dual_lshlrev_b32 v4, 30, v38
	v_xor_b32_e32 v5, 0x80000000, v19
	s_delay_alu instid0(VALU_DEP_2) | instskip(NEXT) | instid1(VALU_DEP_3)
	v_dual_cndmask_b32 v0, 0, v0, s2 :: v_dual_bitop2_b32 v1, v1, v15 bitop3:0x14
	v_and_b32_e32 v4, 0x80000000, v4
	s_delay_alu instid0(VALU_DEP_3) | instskip(NEXT) | instid1(VALU_DEP_3)
	v_cndmask_b32_e32 v5, v5, v21, vcc_lo
	v_cndmask_b32_e64 v1, 0x7ff80000, v1, s2
	s_delay_alu instid0(VALU_DEP_2) | instskip(NEXT) | instid1(VALU_DEP_2)
	v_xor_b32_e32 v4, v5, v4
	v_mul_f64_e32 v[0:1], v[24:25], v[0:1]
	s_delay_alu instid0(VALU_DEP_2) | instskip(SKIP_2) | instid1(VALU_DEP_3)
	v_cndmask_b32_e64 v15, 0x7ff80000, v4, s2
	v_fmac_f64_e32 v[2:3], v[26:27], v[26:27]
	v_add_f64_e64 v[4:5], s[8:9], s[8:9]
	v_fmamk_f64 v[0:1], v[14:15], 0x408f4000, v[0:1]
	scratch_store_b64 off, v[4:5], off offset:160 ; 8-byte Folded Spill
	v_fmac_f64_e32 v[2:3], v[0:1], v[0:1]
	s_wait_xcnt 0x0
	v_mul_f64_e32 v[4:5], v[4:5], v[0:1]
	s_delay_alu instid0(VALU_DEP_2) | instskip(NEXT) | instid1(VALU_DEP_1)
	v_fma_f64 v[2:3], -s[8:9], s[8:9], v[2:3]
	v_mul_f64_e32 v[14:15], v[2:3], v[2:3]
	s_delay_alu instid0(VALU_DEP_1) | instskip(NEXT) | instid1(VALU_DEP_1)
	v_fmac_f64_e32 v[14:15], v[4:5], v[4:5]
	v_cmp_gt_f64_e32 vcc_lo, 0x10000000, v[14:15]
	v_cndmask_b32_e64 v4, 0, 0x100, vcc_lo
	s_delay_alu instid0(VALU_DEP_1) | instskip(NEXT) | instid1(VALU_DEP_1)
	v_ldexp_f64 v[4:5], v[14:15], v4
	v_rsq_f64_e32 v[14:15], v[4:5]
	v_nop
	s_delay_alu instid0(TRANS32_DEP_1) | instskip(SKIP_1) | instid1(VALU_DEP_1)
	v_mul_f64_e32 v[16:17], v[4:5], v[14:15]
	v_mul_f64_e32 v[14:15], 0.5, v[14:15]
	v_fma_f64 v[18:19], -v[14:15], v[16:17], 0.5
	s_delay_alu instid0(VALU_DEP_1) | instskip(SKIP_1) | instid1(VALU_DEP_2)
	v_fmac_f64_e32 v[16:17], v[16:17], v[18:19]
	v_fmac_f64_e32 v[14:15], v[14:15], v[18:19]
	v_fma_f64 v[18:19], -v[16:17], v[16:17], v[4:5]
	s_delay_alu instid0(VALU_DEP_1) | instskip(NEXT) | instid1(VALU_DEP_1)
	v_fmac_f64_e32 v[16:17], v[18:19], v[14:15]
	v_fma_f64 v[18:19], -v[16:17], v[16:17], v[4:5]
	s_delay_alu instid0(VALU_DEP_1) | instskip(SKIP_2) | instid1(VALU_DEP_2)
	v_fmac_f64_e32 v[16:17], v[18:19], v[14:15]
	v_cndmask_b32_e64 v14, 0, 0xffffff80, vcc_lo
	v_cmp_class_f64_e64 vcc_lo, v[4:5], 0x260
	v_ldexp_f64 v[14:15], v[16:17], v14
	s_delay_alu instid0(VALU_DEP_1) | instskip(NEXT) | instid1(VALU_DEP_1)
	v_dual_cndmask_b32 v5, v15, v5 :: v_dual_cndmask_b32 v4, v14, v4
	v_add_f64_e32 v[2:3], v[2:3], v[4:5]
	s_delay_alu instid0(VALU_DEP_1) | instskip(NEXT) | instid1(VALU_DEP_1)
	v_mul_f64_e32 v[2:3], 0.5, v[2:3]
	v_cmp_gt_f64_e32 vcc_lo, 0x10000000, v[2:3]
	v_cndmask_b32_e64 v4, 0, 0x100, vcc_lo
	s_delay_alu instid0(VALU_DEP_1) | instskip(NEXT) | instid1(VALU_DEP_1)
	v_ldexp_f64 v[2:3], v[2:3], v4
	v_rsq_f64_e32 v[4:5], v[2:3]
	v_nop
	s_delay_alu instid0(TRANS32_DEP_1) | instskip(SKIP_1) | instid1(VALU_DEP_1)
	v_mul_f64_e32 v[14:15], v[2:3], v[4:5]
	v_mul_f64_e32 v[4:5], 0.5, v[4:5]
	v_fma_f64 v[16:17], -v[4:5], v[14:15], 0.5
	s_delay_alu instid0(VALU_DEP_1) | instskip(SKIP_1) | instid1(VALU_DEP_2)
	v_fmac_f64_e32 v[14:15], v[14:15], v[16:17]
	v_fmac_f64_e32 v[4:5], v[4:5], v[16:17]
	v_fma_f64 v[16:17], -v[14:15], v[14:15], v[2:3]
	s_delay_alu instid0(VALU_DEP_1) | instskip(NEXT) | instid1(VALU_DEP_1)
	v_fmac_f64_e32 v[14:15], v[16:17], v[4:5]
	v_fma_f64 v[16:17], -v[14:15], v[14:15], v[2:3]
	s_delay_alu instid0(VALU_DEP_1) | instskip(SKIP_2) | instid1(VALU_DEP_2)
	v_fmac_f64_e32 v[14:15], v[16:17], v[4:5]
	v_cndmask_b32_e64 v4, 0, 0xffffff80, vcc_lo
	v_cmp_class_f64_e64 vcc_lo, v[2:3], 0x260
	v_ldexp_f64 v[4:5], v[14:15], v4
	s_delay_alu instid0(VALU_DEP_1) | instskip(NEXT) | instid1(VALU_DEP_1)
	v_dual_cndmask_b32 v111, v5, v3 :: v_dual_cndmask_b32 v110, v4, v2
	v_div_scale_f64 v[2:3], null, v[110:111], v[110:111], v[0:1]
	v_div_scale_f64 v[16:17], vcc_lo, v[0:1], v[110:111], v[0:1]
	s_delay_alu instid0(VALU_DEP_2) | instskip(SKIP_1) | instid1(TRANS32_DEP_1)
	v_rcp_f64_e32 v[4:5], v[2:3]
	v_nop
	v_fma_f64 v[14:15], -v[2:3], v[4:5], 1.0
	s_delay_alu instid0(VALU_DEP_1) | instskip(NEXT) | instid1(VALU_DEP_1)
	v_fmac_f64_e32 v[4:5], v[4:5], v[14:15]
	v_fma_f64 v[14:15], -v[2:3], v[4:5], 1.0
	s_delay_alu instid0(VALU_DEP_1) | instskip(NEXT) | instid1(VALU_DEP_1)
	v_fmac_f64_e32 v[4:5], v[4:5], v[14:15]
	v_mul_f64_e32 v[14:15], v[16:17], v[4:5]
	s_delay_alu instid0(VALU_DEP_1) | instskip(NEXT) | instid1(VALU_DEP_1)
	v_fma_f64 v[2:3], -v[2:3], v[14:15], v[16:17]
	v_div_fmas_f64 v[2:3], v[2:3], v[4:5], v[14:15]
	s_delay_alu instid0(VALU_DEP_1) | instskip(NEXT) | instid1(VALU_DEP_1)
	v_div_fixup_f64 v[2:3], v[2:3], v[110:111], v[0:1]
	v_fma_f64 v[16:17], |v[2:3]|, -0.5, 0.5
	v_mul_f64_e32 v[0:1], v[2:3], v[2:3]
	v_cmp_ge_f64_e64 vcc_lo, |v[2:3]|, 0.5
	s_delay_alu instid0(VALU_DEP_2) | instskip(NEXT) | instid1(VALU_DEP_1)
	v_dual_cndmask_b32 v1, v1, v17 :: v_dual_cndmask_b32 v0, v0, v16
	v_fmaak_f64 v[4:5], s[4:5], v[0:1], 0xbf90a5a378a05eaf
	s_mov_b64 s[4:5], 0x3ffaf154eeb562d6
	s_delay_alu instid0(VALU_DEP_1) | instskip(NEXT) | instid1(VALU_DEP_1)
	v_fmaak_f64 v[4:5], v[0:1], v[4:5], 0x3f94052137024d6a
	v_fmaak_f64 v[4:5], v[0:1], v[4:5], 0x3f7ab3a098a70509
	s_delay_alu instid0(VALU_DEP_1) | instskip(NEXT) | instid1(VALU_DEP_1)
	v_fmaak_f64 v[4:5], v[0:1], v[4:5], 0x3f88ed60a300c8d2
	v_fmaak_f64 v[4:5], v[0:1], v[4:5], 0x3f8c6fa84b77012b
	;; [unrolled: 3-line block ×5, first 2 shown]
	s_delay_alu instid0(VALU_DEP_1) | instskip(NEXT) | instid1(VALU_DEP_1)
	v_mul_f64_e32 v[14:15], v[0:1], v[4:5]
	v_fma_f64 v[0:1], v[2:3], v[14:15], v[2:3]
	s_delay_alu instid0(VALU_DEP_1)
	v_fma_f64 v[66:67], s[12:13], s[4:5], -v[0:1]
	s_and_saveexec_b32 s3, vcc_lo
	s_cbranch_execz .LBB0_20
; %bb.19:
	v_rsq_f64_e32 v[0:1], v[16:17]
	v_cmp_eq_f64_e32 vcc_lo, 0, v[16:17]
	s_delay_alu instid0(TRANS32_DEP_1) | instskip(SKIP_1) | instid1(VALU_DEP_1)
	v_mul_f64_e32 v[4:5], v[16:17], v[0:1]
	v_mul_f64_e32 v[0:1], 0.5, v[0:1]
	v_fma_f64 v[18:19], -v[0:1], v[4:5], 0.5
	s_delay_alu instid0(VALU_DEP_1) | instskip(SKIP_1) | instid1(VALU_DEP_2)
	v_fmac_f64_e32 v[4:5], v[4:5], v[18:19]
	v_fmac_f64_e32 v[0:1], v[0:1], v[18:19]
	v_fma_f64 v[18:19], -v[4:5], v[4:5], v[16:17]
	s_delay_alu instid0(VALU_DEP_1) | instskip(NEXT) | instid1(VALU_DEP_1)
	v_fmac_f64_e32 v[4:5], v[18:19], v[0:1]
	v_dual_cndmask_b32 v1, v5, v17 :: v_dual_cndmask_b32 v0, v4, v16
	s_delay_alu instid0(VALU_DEP_1) | instskip(SKIP_1) | instid1(VALU_DEP_2)
	v_add_f64_e32 v[4:5], v[0:1], v[0:1]
	v_mul_f64_e32 v[18:19], v[0:1], v[0:1]
	v_rcp_f64_e32 v[20:21], v[4:5]
	s_delay_alu instid0(VALU_DEP_1) | instskip(SKIP_1) | instid1(VALU_DEP_2)
	v_add_f64_e64 v[22:23], v[16:17], -v[18:19]
	v_fma_f64 v[32:33], v[0:1], v[0:1], -v[18:19]
	v_add_f64_e64 v[16:17], v[16:17], -v[22:23]
	s_delay_alu instid0(TRANS32_DEP_1) | instskip(NEXT) | instid1(VALU_DEP_2)
	v_fma_f64 v[30:31], -v[4:5], v[20:21], 1.0
	v_add_f64_e64 v[16:17], v[16:17], -v[18:19]
	s_delay_alu instid0(VALU_DEP_2) | instskip(NEXT) | instid1(VALU_DEP_2)
	v_fmac_f64_e32 v[20:21], v[30:31], v[20:21]
	v_add_f64_e64 v[16:17], v[16:17], -v[32:33]
	s_delay_alu instid0(VALU_DEP_2) | instskip(NEXT) | instid1(VALU_DEP_2)
	v_fma_f64 v[18:19], -v[4:5], v[20:21], 1.0
	v_add_f64_e32 v[16:17], v[22:23], v[16:17]
	s_delay_alu instid0(VALU_DEP_2) | instskip(NEXT) | instid1(VALU_DEP_1)
	v_fmac_f64_e32 v[20:21], v[18:19], v[20:21]
	v_mul_f64_e32 v[18:19], v[16:17], v[20:21]
	s_delay_alu instid0(VALU_DEP_1) | instskip(NEXT) | instid1(VALU_DEP_1)
	v_fma_f64 v[4:5], -v[4:5], v[18:19], v[16:17]
	v_fmac_f64_e32 v[18:19], v[4:5], v[20:21]
	s_delay_alu instid0(VALU_DEP_1) | instskip(NEXT) | instid1(VALU_DEP_2)
	v_cndmask_b32_e64 v5, v19, 0, vcc_lo
	v_cndmask_b32_e64 v4, v18, 0, vcc_lo
	v_cmp_gt_f64_e32 vcc_lo, 0, v[2:3]
	s_delay_alu instid0(VALU_DEP_2) | instskip(NEXT) | instid1(VALU_DEP_1)
	v_add_f64_e32 v[16:17], v[0:1], v[4:5]
	v_add_f64_e64 v[0:1], v[16:17], -v[0:1]
	s_delay_alu instid0(VALU_DEP_1) | instskip(SKIP_1) | instid1(VALU_DEP_2)
	v_add_f64_e64 v[0:1], v[4:5], -v[0:1]
	v_fma_f64 v[4:5], v[16:17], v[14:15], v[16:17]
	v_fmac_f64_e32 v[0:1], v[16:17], v[14:15]
	s_delay_alu instid0(VALU_DEP_2) | instskip(NEXT) | instid1(VALU_DEP_2)
	v_mul_f64_e32 v[4:5], -2.0, v[4:5]
	v_add_f64_e32 v[0:1], v[16:17], v[0:1]
	s_delay_alu instid0(VALU_DEP_2) | instskip(NEXT) | instid1(VALU_DEP_2)
	v_fmamk_f64 v[4:5], s[4:5], 0x3ffdd9ad336a0500, v[4:5]
	v_add_f64_e32 v[0:1], v[0:1], v[0:1]
	s_delay_alu instid0(VALU_DEP_1) | instskip(SKIP_1) | instid1(VALU_DEP_2)
	v_dual_cndmask_b32 v1, v1, v5 :: v_dual_cndmask_b32 v0, v0, v4
	v_cmp_neq_f64_e32 vcc_lo, -1.0, v[2:3]
	v_cndmask_b32_e32 v0, 0x54442d18, v0, vcc_lo
	s_delay_alu instid0(VALU_DEP_3) | instskip(SKIP_1) | instid1(VALU_DEP_2)
	v_cndmask_b32_e32 v1, 0x400921fb, v1, vcc_lo
	v_cmp_neq_f64_e32 vcc_lo, 1.0, v[2:3]
	v_dual_cndmask_b32 v67, 0, v1 :: v_dual_cndmask_b32 v66, 0, v0
.LBB0_20:
	s_or_b32 exec_lo, exec_lo, s3
	s_delay_alu instid0(VALU_DEP_1)
	v_cmp_ngt_f64_e64 s12, 0x41d00000, |v[66:67]|
	v_trig_preop_f64 v[62:63], |v[66:67]|, 0
	v_trig_preop_f64 v[32:33], |v[66:67]|, 1
	v_ldexp_f64 v[64:65], |v[66:67]|, 0xffffff80
	v_trig_preop_f64 v[2:3], |v[66:67]|, 2
	v_and_b32_e32 v1, 0x7fffffff, v67
                                        ; implicit-def: $vgpr82
                                        ; implicit-def: $vgpr18_vgpr19
                                        ; implicit-def: $vgpr20_vgpr21
	s_and_saveexec_b32 s3, s12
	s_delay_alu instid0(SALU_CYCLE_1)
	s_xor_b32 s3, exec_lo, s3
	s_cbranch_execz .LBB0_22
; %bb.21:
	v_cmp_le_f64_e64 vcc_lo, 0x7b000000, |v[66:67]|
	s_mov_b64 s[4:5], 0x3ff921fb54442d18
	v_dual_mov_b32 v42, 0 :: v_dual_cndmask_b32 v15, v1, v65
	v_cndmask_b32_e32 v14, v66, v64, vcc_lo
	s_delay_alu instid0(VALU_DEP_1) | instskip(SKIP_2) | instid1(VALU_DEP_3)
	v_mul_f64_e32 v[16:17], v[62:63], v[14:15]
	v_mul_f64_e32 v[18:19], v[32:33], v[14:15]
	;; [unrolled: 1-line block ×3, first 2 shown]
	v_fma_f64 v[20:21], v[62:63], v[14:15], -v[16:17]
	s_delay_alu instid0(VALU_DEP_3) | instskip(NEXT) | instid1(VALU_DEP_3)
	v_fma_f64 v[40:41], v[32:33], v[14:15], -v[18:19]
	v_fma_f64 v[14:15], v[2:3], v[14:15], -v[38:39]
	s_delay_alu instid0(VALU_DEP_3) | instskip(NEXT) | instid1(VALU_DEP_1)
	v_add_f64_e32 v[22:23], v[18:19], v[20:21]
	v_add_f64_e64 v[30:31], v[22:23], -v[18:19]
	v_add_f64_e32 v[36:37], v[16:17], v[22:23]
	s_delay_alu instid0(VALU_DEP_2) | instskip(SKIP_1) | instid1(VALU_DEP_3)
	v_add_f64_e64 v[34:35], v[22:23], -v[30:31]
	v_add_f64_e64 v[20:21], v[20:21], -v[30:31]
	v_ldexp_f64 v[30:31], v[36:37], -2
	s_delay_alu instid0(VALU_DEP_3) | instskip(SKIP_1) | instid1(VALU_DEP_3)
	v_add_f64_e64 v[18:19], v[18:19], -v[34:35]
	v_add_f64_e32 v[34:35], v[38:39], v[40:41]
	v_cmp_neq_f64_e64 vcc_lo, 0x7ff00000, |v[30:31]|
	s_delay_alu instid0(VALU_DEP_3) | instskip(SKIP_1) | instid1(VALU_DEP_1)
	v_add_f64_e32 v[18:19], v[20:21], v[18:19]
	v_fract_f64_e32 v[20:21], v[30:31]
	v_ldexp_f64 v[20:21], v[20:21], 2
	s_delay_alu instid0(VALU_DEP_1) | instskip(SKIP_1) | instid1(VALU_DEP_3)
	v_cndmask_b32_e32 v21, 0, v21, vcc_lo
	v_add_f64_e64 v[16:17], v[36:37], -v[16:17]
	v_cndmask_b32_e32 v20, 0, v20, vcc_lo
	s_delay_alu instid0(VALU_DEP_2) | instskip(SKIP_1) | instid1(VALU_DEP_1)
	v_add_f64_e64 v[16:17], v[22:23], -v[16:17]
	v_add_f64_e32 v[22:23], v[34:35], v[18:19]
	v_add_f64_e32 v[30:31], v[16:17], v[22:23]
	v_add_f64_e64 v[44:45], v[22:23], -v[34:35]
	s_delay_alu instid0(VALU_DEP_2) | instskip(NEXT) | instid1(VALU_DEP_2)
	v_add_f64_e32 v[36:37], v[30:31], v[20:21]
	v_add_f64_e64 v[50:51], v[22:23], -v[44:45]
	v_add_f64_e64 v[18:19], v[18:19], -v[44:45]
	;; [unrolled: 1-line block ×3, first 2 shown]
	s_delay_alu instid0(VALU_DEP_4) | instskip(SKIP_1) | instid1(VALU_DEP_3)
	v_cmp_gt_f64_e32 vcc_lo, 0, v[36:37]
	v_add_f64_e64 v[36:37], v[34:35], -v[38:39]
	v_add_f64_e64 v[16:17], v[22:23], -v[16:17]
	v_cndmask_b32_e64 v43, 0, 0x40100000, vcc_lo
	s_delay_alu instid0(VALU_DEP_3) | instskip(SKIP_2) | instid1(VALU_DEP_4)
	v_add_f64_e64 v[48:49], v[34:35], -v[36:37]
	v_add_f64_e64 v[36:37], v[40:41], -v[36:37]
	v_add_f64_e64 v[34:35], v[34:35], -v[50:51]
	v_add_f64_e32 v[20:21], v[20:21], v[42:43]
	s_delay_alu instid0(VALU_DEP_4) | instskip(NEXT) | instid1(VALU_DEP_3)
	v_add_f64_e64 v[40:41], v[38:39], -v[48:49]
	v_add_f64_e32 v[18:19], v[18:19], v[34:35]
	s_delay_alu instid0(VALU_DEP_3) | instskip(NEXT) | instid1(VALU_DEP_3)
	v_add_f64_e32 v[46:47], v[30:31], v[20:21]
	v_add_f64_e32 v[36:37], v[36:37], v[40:41]
	s_delay_alu instid0(VALU_DEP_2) | instskip(NEXT) | instid1(VALU_DEP_2)
	v_cvt_i32_f64_e32 v0, v[46:47]
	v_add_f64_e32 v[18:19], v[36:37], v[18:19]
	s_delay_alu instid0(VALU_DEP_2) | instskip(NEXT) | instid1(VALU_DEP_2)
	v_cvt_f64_i32_e32 v[44:45], v0
	v_add_f64_e32 v[14:15], v[14:15], v[18:19]
	s_delay_alu instid0(VALU_DEP_2) | instskip(NEXT) | instid1(VALU_DEP_2)
	v_add_f64_e64 v[20:21], v[20:21], -v[44:45]
	v_add_f64_e32 v[14:15], v[16:17], v[14:15]
	s_delay_alu instid0(VALU_DEP_2) | instskip(NEXT) | instid1(VALU_DEP_1)
	v_add_f64_e32 v[34:35], v[30:31], v[20:21]
	v_add_f64_e64 v[18:19], v[34:35], -v[20:21]
	v_cmp_le_f64_e32 vcc_lo, 0.5, v[34:35]
	s_delay_alu instid0(VALU_DEP_2) | instskip(SKIP_2) | instid1(VALU_DEP_3)
	v_add_f64_e64 v[16:17], v[30:31], -v[18:19]
	v_cndmask_b32_e64 v43, 0, 0x3ff00000, vcc_lo
	v_add_co_ci_u32_e64 v82, null, 0, v0, vcc_lo
	v_add_f64_e32 v[14:15], v[14:15], v[16:17]
	s_delay_alu instid0(VALU_DEP_3) | instskip(NEXT) | instid1(VALU_DEP_1)
	v_add_f64_e64 v[16:17], v[34:35], -v[42:43]
	v_add_f64_e32 v[18:19], v[16:17], v[14:15]
	s_delay_alu instid0(VALU_DEP_1) | instskip(SKIP_1) | instid1(VALU_DEP_2)
	v_mul_f64_e32 v[20:21], 0x3ff921fb54442d18, v[18:19]
	v_add_f64_e64 v[16:17], v[18:19], -v[16:17]
	v_fma_f64 v[22:23], v[18:19], s[4:5], -v[20:21]
	s_delay_alu instid0(VALU_DEP_2) | instskip(NEXT) | instid1(VALU_DEP_2)
	v_add_f64_e64 v[14:15], v[14:15], -v[16:17]
	v_fmamk_f64 v[16:17], v[18:19], 0x3c91a62633145c07, v[22:23]
	s_delay_alu instid0(VALU_DEP_1) | instskip(NEXT) | instid1(VALU_DEP_1)
	v_fmac_f64_e32 v[16:17], 0x3ff921fb54442d18, v[14:15]
	v_add_f64_e32 v[18:19], v[20:21], v[16:17]
	s_delay_alu instid0(VALU_DEP_1) | instskip(NEXT) | instid1(VALU_DEP_1)
	v_add_f64_e64 v[14:15], v[18:19], -v[20:21]
	v_add_f64_e64 v[20:21], v[16:17], -v[14:15]
	s_and_not1_saveexec_b32 s3, s3
	s_cbranch_execz .LBB0_24
	s_branch .LBB0_23
.LBB0_22:
	s_and_not1_saveexec_b32 s3, s3
	s_cbranch_execz .LBB0_24
.LBB0_23:
	s_mov_b64 s[4:5], 0x3fe45f306dc9c883
	s_delay_alu instid0(SALU_CYCLE_1) | instskip(SKIP_1) | instid1(VALU_DEP_1)
	v_mul_f64_e64 v[14:15], |v[66:67]|, s[4:5]
	s_mov_b64 s[4:5], 0xbff921fb54442d18
	v_rndne_f64_e32 v[14:15], v[14:15]
	s_delay_alu instid0(VALU_DEP_1) | instskip(SKIP_2) | instid1(VALU_DEP_2)
	v_fma_f64 v[16:17], v[14:15], s[4:5], |v[66:67]|
	v_mul_f64_e32 v[18:19], 0xbc91a62633145c00, v[14:15]
	v_cvt_i32_f64_e32 v82, v[14:15]
	v_add_f64_e32 v[20:21], v[16:17], v[18:19]
	s_delay_alu instid0(VALU_DEP_1) | instskip(SKIP_1) | instid1(VALU_DEP_1)
	v_add_f64_e64 v[22:23], v[16:17], -v[20:21]
	v_fmamk_f64 v[16:17], v[14:15], 0xbc91a62633145c00, v[16:17]
	v_add_f64_e64 v[20:21], v[20:21], -v[16:17]
	s_delay_alu instid0(VALU_DEP_3) | instskip(SKIP_1) | instid1(VALU_DEP_2)
	v_add_f64_e32 v[22:23], v[22:23], v[18:19]
	v_fmamk_f64 v[18:19], v[14:15], 0x3c91a62633145c00, v[18:19]
	v_add_f64_e32 v[20:21], v[20:21], v[22:23]
	s_delay_alu instid0(VALU_DEP_1) | instskip(NEXT) | instid1(VALU_DEP_1)
	v_add_f64_e64 v[18:19], v[20:21], -v[18:19]
	v_fmamk_f64 v[20:21], v[14:15], 0xb97b839a252049c0, v[18:19]
	s_delay_alu instid0(VALU_DEP_1) | instskip(NEXT) | instid1(VALU_DEP_1)
	v_add_f64_e32 v[18:19], v[16:17], v[20:21]
	v_add_f64_e64 v[16:17], v[18:19], -v[16:17]
	s_delay_alu instid0(VALU_DEP_1)
	v_add_f64_e64 v[20:21], v[20:21], -v[16:17]
.LBB0_24:
	s_or_b32 exec_lo, exec_lo, s3
                                        ; implicit-def: $vgpr81
                                        ; implicit-def: $vgpr14_vgpr15
                                        ; implicit-def: $vgpr16_vgpr17
	s_and_saveexec_b32 s3, s12
	s_delay_alu instid0(SALU_CYCLE_1)
	s_xor_b32 s3, exec_lo, s3
	s_cbranch_execz .LBB0_28
; %bb.25:
	v_cmp_le_f64_e64 vcc_lo, 0x7b000000, |v[66:67]|
	s_mov_b64 s[4:5], 0x3ff921fb54442d18
	v_dual_mov_b32 v46, 0 :: v_dual_cndmask_b32 v15, v1, v65
	v_cndmask_b32_e32 v14, v66, v64, vcc_lo
	s_delay_alu instid0(VALU_DEP_1) | instskip(SKIP_2) | instid1(VALU_DEP_3)
	v_mul_f64_e32 v[16:17], v[62:63], v[14:15]
	v_mul_f64_e32 v[22:23], v[32:33], v[14:15]
	;; [unrolled: 1-line block ×3, first 2 shown]
	v_fma_f64 v[30:31], v[62:63], v[14:15], -v[16:17]
	s_delay_alu instid0(VALU_DEP_3) | instskip(NEXT) | instid1(VALU_DEP_3)
	v_fma_f64 v[44:45], v[32:33], v[14:15], -v[22:23]
	v_fma_f64 v[14:15], v[2:3], v[14:15], -v[42:43]
	s_delay_alu instid0(VALU_DEP_3) | instskip(NEXT) | instid1(VALU_DEP_1)
	v_add_f64_e32 v[34:35], v[22:23], v[30:31]
	v_add_f64_e64 v[36:37], v[34:35], -v[22:23]
	v_add_f64_e32 v[40:41], v[16:17], v[34:35]
	s_delay_alu instid0(VALU_DEP_2) | instskip(SKIP_1) | instid1(VALU_DEP_3)
	v_add_f64_e64 v[38:39], v[34:35], -v[36:37]
	v_add_f64_e64 v[30:31], v[30:31], -v[36:37]
	v_ldexp_f64 v[36:37], v[40:41], -2
	v_add_f64_e64 v[16:17], v[40:41], -v[16:17]
	s_delay_alu instid0(VALU_DEP_4) | instskip(NEXT) | instid1(VALU_DEP_3)
	v_add_f64_e64 v[22:23], v[22:23], -v[38:39]
	v_cmp_neq_f64_e64 vcc_lo, 0x7ff00000, |v[36:37]|
	s_delay_alu instid0(VALU_DEP_3) | instskip(NEXT) | instid1(VALU_DEP_3)
	v_add_f64_e64 v[16:17], v[34:35], -v[16:17]
	v_add_f64_e32 v[22:23], v[30:31], v[22:23]
	v_fract_f64_e32 v[30:31], v[36:37]
	s_delay_alu instid0(VALU_DEP_1) | instskip(NEXT) | instid1(VALU_DEP_1)
	v_ldexp_f64 v[30:31], v[30:31], 2
	v_dual_add_f64 v[38:39], v[42:43], v[44:45] :: v_dual_cndmask_b32 v30, 0, v30, vcc_lo
	s_delay_alu instid0(VALU_DEP_1) | instskip(NEXT) | instid1(VALU_DEP_3)
	v_add_f64_e32 v[34:35], v[38:39], v[22:23]
	v_cndmask_b32_e32 v31, 0, v31, vcc_lo
	s_delay_alu instid0(VALU_DEP_2) | instskip(SKIP_1) | instid1(VALU_DEP_2)
	v_add_f64_e32 v[36:37], v[16:17], v[34:35]
	v_add_f64_e64 v[48:49], v[34:35], -v[38:39]
	v_add_f64_e32 v[40:41], v[36:37], v[30:31]
	s_delay_alu instid0(VALU_DEP_2) | instskip(SKIP_2) | instid1(VALU_DEP_4)
	v_add_f64_e64 v[54:55], v[34:35], -v[48:49]
	v_add_f64_e64 v[22:23], v[22:23], -v[48:49]
	v_add_f64_e64 v[16:17], v[36:37], -v[16:17]
	v_cmp_gt_f64_e32 vcc_lo, 0, v[40:41]
	v_add_f64_e64 v[40:41], v[38:39], -v[42:43]
	s_delay_alu instid0(VALU_DEP_3) | instskip(SKIP_1) | instid1(VALU_DEP_3)
	v_add_f64_e64 v[16:17], v[34:35], -v[16:17]
	v_cndmask_b32_e64 v47, 0, 0x40100000, vcc_lo
	v_add_f64_e64 v[52:53], v[38:39], -v[40:41]
	v_add_f64_e64 v[40:41], v[44:45], -v[40:41]
	v_add_f64_e64 v[38:39], v[38:39], -v[54:55]
	s_delay_alu instid0(VALU_DEP_4) | instskip(NEXT) | instid1(VALU_DEP_4)
	v_add_f64_e32 v[30:31], v[30:31], v[46:47]
	v_add_f64_e64 v[44:45], v[42:43], -v[52:53]
	s_delay_alu instid0(VALU_DEP_3) | instskip(NEXT) | instid1(VALU_DEP_3)
	v_add_f64_e32 v[22:23], v[22:23], v[38:39]
	v_add_f64_e32 v[50:51], v[36:37], v[30:31]
	s_delay_alu instid0(VALU_DEP_3) | instskip(NEXT) | instid1(VALU_DEP_2)
	v_add_f64_e32 v[40:41], v[40:41], v[44:45]
	v_cvt_i32_f64_e32 v0, v[50:51]
	s_delay_alu instid0(VALU_DEP_2) | instskip(NEXT) | instid1(VALU_DEP_2)
	v_add_f64_e32 v[22:23], v[40:41], v[22:23]
	v_cvt_f64_i32_e32 v[48:49], v0
	s_delay_alu instid0(VALU_DEP_2) | instskip(NEXT) | instid1(VALU_DEP_2)
	v_add_f64_e32 v[14:15], v[14:15], v[22:23]
	v_add_f64_e64 v[30:31], v[30:31], -v[48:49]
	s_delay_alu instid0(VALU_DEP_2) | instskip(NEXT) | instid1(VALU_DEP_2)
	v_add_f64_e32 v[14:15], v[16:17], v[14:15]
	v_add_f64_e32 v[38:39], v[36:37], v[30:31]
	s_delay_alu instid0(VALU_DEP_1) | instskip(SKIP_1) | instid1(VALU_DEP_2)
	v_add_f64_e64 v[22:23], v[38:39], -v[30:31]
	v_cmp_le_f64_e32 vcc_lo, 0.5, v[38:39]
	v_add_f64_e64 v[16:17], v[36:37], -v[22:23]
	v_cndmask_b32_e64 v47, 0, 0x3ff00000, vcc_lo
	v_add_co_ci_u32_e64 v81, null, 0, v0, vcc_lo
	s_delay_alu instid0(VALU_DEP_3) | instskip(NEXT) | instid1(VALU_DEP_3)
	v_add_f64_e32 v[14:15], v[14:15], v[16:17]
	v_add_f64_e64 v[16:17], v[38:39], -v[46:47]
	s_delay_alu instid0(VALU_DEP_1) | instskip(NEXT) | instid1(VALU_DEP_1)
	v_add_f64_e32 v[22:23], v[16:17], v[14:15]
	v_mul_f64_e32 v[30:31], 0x3ff921fb54442d18, v[22:23]
	v_add_f64_e64 v[16:17], v[22:23], -v[16:17]
	s_delay_alu instid0(VALU_DEP_2) | instskip(NEXT) | instid1(VALU_DEP_2)
	v_fma_f64 v[34:35], v[22:23], s[4:5], -v[30:31]
	v_add_f64_e64 v[14:15], v[14:15], -v[16:17]
	s_delay_alu instid0(VALU_DEP_2) | instskip(NEXT) | instid1(VALU_DEP_1)
	v_fmamk_f64 v[16:17], v[22:23], 0x3c91a62633145c07, v[34:35]
	v_fmac_f64_e32 v[16:17], 0x3ff921fb54442d18, v[14:15]
	s_delay_alu instid0(VALU_DEP_1) | instskip(NEXT) | instid1(VALU_DEP_1)
	v_add_f64_e32 v[14:15], v[30:31], v[16:17]
	v_add_f64_e64 v[22:23], v[14:15], -v[30:31]
	s_delay_alu instid0(VALU_DEP_1)
	v_add_f64_e64 v[16:17], v[16:17], -v[22:23]
	s_and_not1_saveexec_b32 s3, s3
	s_cbranch_execnz .LBB0_29
.LBB0_26:
	s_or_b32 exec_lo, exec_lo, s3
	s_delay_alu instid0(SALU_CYCLE_1)
	s_and_b32 vcc_lo, exec_lo, s10
	s_cbranch_vccz .LBB0_30
.LBB0_27:
	v_cmp_le_f64_e64 vcc_lo, 0x7b000000, |s[6:7]|
	s_and_b32 s3, s7, 0x7fffffff
	s_mov_b32 s4, 0
	s_mov_b64 s[14:15], 0x3ff921fb54442d18
	v_cndmask_b32_e32 v23, s3, v29, vcc_lo
	v_cndmask_b32_e32 v22, s6, v28, vcc_lo
	s_delay_alu instid0(VALU_DEP_1) | instskip(SKIP_1) | instid1(VALU_DEP_2)
	v_mul_f64_e32 v[30:31], v[12:13], v[22:23]
	v_mul_f64_e32 v[34:35], v[10:11], v[22:23]
	v_fma_f64 v[36:37], v[12:13], v[22:23], -v[30:31]
	s_delay_alu instid0(VALU_DEP_1) | instskip(NEXT) | instid1(VALU_DEP_1)
	v_add_f64_e32 v[38:39], v[34:35], v[36:37]
	v_add_f64_e64 v[40:41], v[38:39], -v[34:35]
	v_add_f64_e32 v[44:45], v[30:31], v[38:39]
	v_fma_f64 v[48:49], v[10:11], v[22:23], -v[34:35]
	v_mul_f64_e32 v[46:47], v[8:9], v[22:23]
	s_delay_alu instid0(VALU_DEP_4) | instskip(SKIP_2) | instid1(VALU_DEP_4)
	v_add_f64_e64 v[42:43], v[38:39], -v[40:41]
	v_add_f64_e64 v[36:37], v[36:37], -v[40:41]
	v_ldexp_f64 v[40:41], v[44:45], -2
	v_fma_f64 v[22:23], v[8:9], v[22:23], -v[46:47]
	s_delay_alu instid0(VALU_DEP_4) | instskip(SKIP_1) | instid1(VALU_DEP_4)
	v_add_f64_e64 v[34:35], v[34:35], -v[42:43]
	v_add_f64_e32 v[42:43], v[46:47], v[48:49]
	v_cmp_neq_f64_e64 vcc_lo, 0x7ff00000, |v[40:41]|
	s_delay_alu instid0(VALU_DEP_3) | instskip(SKIP_1) | instid1(VALU_DEP_1)
	v_add_f64_e32 v[34:35], v[36:37], v[34:35]
	v_fract_f64_e32 v[36:37], v[40:41]
	v_ldexp_f64 v[36:37], v[36:37], 2
	s_delay_alu instid0(VALU_DEP_1) | instskip(NEXT) | instid1(VALU_DEP_1)
	v_dual_add_f64 v[30:31], v[44:45], -v[30:31] :: v_dual_cndmask_b32 v37, 0, v37, vcc_lo
	v_dual_add_f64 v[30:31], v[38:39], -v[30:31] :: v_dual_cndmask_b32 v36, 0, v36, vcc_lo
	v_add_f64_e32 v[38:39], v[42:43], v[34:35]
	s_delay_alu instid0(VALU_DEP_1) | instskip(SKIP_1) | instid1(VALU_DEP_2)
	v_add_f64_e32 v[40:41], v[30:31], v[38:39]
	v_add_f64_e64 v[50:51], v[38:39], -v[42:43]
	v_add_f64_e32 v[44:45], v[40:41], v[36:37]
	s_delay_alu instid0(VALU_DEP_2) | instskip(SKIP_2) | instid1(VALU_DEP_4)
	v_add_f64_e64 v[56:57], v[38:39], -v[50:51]
	v_add_f64_e64 v[34:35], v[34:35], -v[50:51]
	;; [unrolled: 1-line block ×3, first 2 shown]
	v_cmp_gt_f64_e32 vcc_lo, 0, v[44:45]
	v_add_f64_e64 v[44:45], v[42:43], -v[46:47]
	s_delay_alu instid0(VALU_DEP_3) | instskip(SKIP_2) | instid1(VALU_DEP_2)
	v_add_f64_e64 v[30:31], v[38:39], -v[30:31]
	s_and_b32 s3, vcc_lo, exec_lo
	s_cselect_b32 s5, 0x40100000, 0
	v_add_f64_e64 v[54:55], v[42:43], -v[44:45]
	v_add_f64_e32 v[36:37], s[4:5], v[36:37]
	v_add_f64_e64 v[44:45], v[48:49], -v[44:45]
	v_add_f64_e64 v[42:43], v[42:43], -v[56:57]
	s_delay_alu instid0(VALU_DEP_4) | instskip(NEXT) | instid1(VALU_DEP_4)
	v_add_f64_e64 v[48:49], v[46:47], -v[54:55]
	v_add_f64_e32 v[52:53], v[40:41], v[36:37]
	s_delay_alu instid0(VALU_DEP_3) | instskip(NEXT) | instid1(VALU_DEP_3)
	v_add_f64_e32 v[34:35], v[34:35], v[42:43]
	v_add_f64_e32 v[44:45], v[44:45], v[48:49]
	s_delay_alu instid0(VALU_DEP_3) | instskip(NEXT) | instid1(VALU_DEP_2)
	v_cvt_i32_f64_e32 v0, v[52:53]
	v_add_f64_e32 v[34:35], v[44:45], v[34:35]
	s_delay_alu instid0(VALU_DEP_2) | instskip(NEXT) | instid1(VALU_DEP_2)
	v_cvt_f64_i32_e32 v[50:51], v0
	v_add_f64_e32 v[22:23], v[22:23], v[34:35]
	s_delay_alu instid0(VALU_DEP_2) | instskip(NEXT) | instid1(VALU_DEP_2)
	v_add_f64_e64 v[36:37], v[36:37], -v[50:51]
	v_add_f64_e32 v[22:23], v[30:31], v[22:23]
	s_delay_alu instid0(VALU_DEP_2) | instskip(NEXT) | instid1(VALU_DEP_1)
	v_add_f64_e32 v[42:43], v[40:41], v[36:37]
	v_add_f64_e64 v[34:35], v[42:43], -v[36:37]
	v_cmp_le_f64_e32 vcc_lo, 0.5, v[42:43]
	s_delay_alu instid0(VALU_DEP_2) | instskip(SKIP_3) | instid1(VALU_DEP_2)
	v_add_f64_e64 v[30:31], v[40:41], -v[34:35]
	s_and_b32 s3, vcc_lo, exec_lo
	s_cselect_b32 s5, 0x3ff00000, 0
	v_add_co_ci_u32_e64 v86, null, 0, v0, vcc_lo
	v_add_f64_e32 v[22:23], v[22:23], v[30:31]
	v_add_f64_e64 v[30:31], v[42:43], -s[4:5]
	s_delay_alu instid0(VALU_DEP_1) | instskip(NEXT) | instid1(VALU_DEP_1)
	v_add_f64_e32 v[34:35], v[30:31], v[22:23]
	v_mul_f64_e32 v[38:39], 0x3ff921fb54442d18, v[34:35]
	v_add_f64_e64 v[30:31], v[34:35], -v[30:31]
	s_delay_alu instid0(VALU_DEP_2) | instskip(NEXT) | instid1(VALU_DEP_2)
	v_fma_f64 v[36:37], v[34:35], s[14:15], -v[38:39]
	v_add_f64_e64 v[22:23], v[22:23], -v[30:31]
	s_delay_alu instid0(VALU_DEP_2) | instskip(NEXT) | instid1(VALU_DEP_1)
	v_fmamk_f64 v[30:31], v[34:35], 0x3c91a62633145c07, v[36:37]
	v_fmac_f64_e32 v[30:31], 0x3ff921fb54442d18, v[22:23]
	s_delay_alu instid0(VALU_DEP_1) | instskip(NEXT) | instid1(VALU_DEP_1)
	v_add_f64_e32 v[36:37], v[38:39], v[30:31]
	v_add_f64_e64 v[22:23], v[36:37], -v[38:39]
	s_delay_alu instid0(VALU_DEP_1)
	v_add_f64_e64 v[38:39], v[30:31], -v[22:23]
	s_cbranch_execz .LBB0_31
	s_branch .LBB0_32
.LBB0_28:
	s_and_not1_saveexec_b32 s3, s3
	s_cbranch_execz .LBB0_26
.LBB0_29:
	s_mov_b64 s[4:5], 0x3fe45f306dc9c883
	s_delay_alu instid0(SALU_CYCLE_1) | instskip(SKIP_1) | instid1(VALU_DEP_1)
	v_mul_f64_e64 v[14:15], |v[66:67]|, s[4:5]
	s_mov_b64 s[4:5], 0xbff921fb54442d18
	v_rndne_f64_e32 v[22:23], v[14:15]
	s_delay_alu instid0(VALU_DEP_1) | instskip(SKIP_2) | instid1(VALU_DEP_3)
	v_fma_f64 v[14:15], v[22:23], s[4:5], |v[66:67]|
	v_mul_f64_e32 v[16:17], 0xbc91a62633145c00, v[22:23]
	v_cvt_i32_f64_e32 v81, v[22:23]
	v_fmamk_f64 v[36:37], v[22:23], 0xbc91a62633145c00, v[14:15]
	s_delay_alu instid0(VALU_DEP_3) | instskip(NEXT) | instid1(VALU_DEP_1)
	v_add_f64_e32 v[30:31], v[14:15], v[16:17]
	v_add_f64_e64 v[34:35], v[14:15], -v[30:31]
	s_delay_alu instid0(VALU_DEP_3) | instskip(NEXT) | instid1(VALU_DEP_2)
	v_add_f64_e64 v[14:15], v[30:31], -v[36:37]
	v_add_f64_e32 v[30:31], v[34:35], v[16:17]
	v_fmamk_f64 v[16:17], v[22:23], 0x3c91a62633145c00, v[16:17]
	s_delay_alu instid0(VALU_DEP_2) | instskip(NEXT) | instid1(VALU_DEP_1)
	v_add_f64_e32 v[14:15], v[14:15], v[30:31]
	v_add_f64_e64 v[14:15], v[14:15], -v[16:17]
	s_delay_alu instid0(VALU_DEP_1) | instskip(NEXT) | instid1(VALU_DEP_1)
	v_fmamk_f64 v[16:17], v[22:23], 0xb97b839a252049c0, v[14:15]
	v_add_f64_e32 v[14:15], v[36:37], v[16:17]
	s_delay_alu instid0(VALU_DEP_1) | instskip(NEXT) | instid1(VALU_DEP_1)
	v_add_f64_e64 v[30:31], v[14:15], -v[36:37]
	v_add_f64_e64 v[16:17], v[16:17], -v[30:31]
	s_or_b32 exec_lo, exec_lo, s3
	s_delay_alu instid0(SALU_CYCLE_1)
	s_and_b32 vcc_lo, exec_lo, s10
	s_cbranch_vccnz .LBB0_27
.LBB0_30:
                                        ; implicit-def: $vgpr86
                                        ; implicit-def: $vgpr36_vgpr37
                                        ; implicit-def: $vgpr38_vgpr39
.LBB0_31:
	s_mov_b64 s[4:5], 0x3fe45f306dc9c883
	s_delay_alu instid0(SALU_CYCLE_1) | instskip(SKIP_1) | instid1(VALU_DEP_1)
	v_mul_f64_e64 v[22:23], |s[6:7]|, s[4:5]
	s_mov_b64 s[4:5], 0xbff921fb54442d18
	v_rndne_f64_e32 v[22:23], v[22:23]
	s_delay_alu instid0(VALU_DEP_1) | instskip(SKIP_2) | instid1(VALU_DEP_2)
	v_fma_f64 v[30:31], v[22:23], s[4:5], |s[6:7]|
	v_mul_f64_e32 v[34:35], 0xbc91a62633145c00, v[22:23]
	v_cvt_i32_f64_e32 v86, v[22:23]
	v_add_f64_e32 v[36:37], v[30:31], v[34:35]
	s_delay_alu instid0(VALU_DEP_1) | instskip(SKIP_1) | instid1(VALU_DEP_1)
	v_add_f64_e64 v[38:39], v[30:31], -v[36:37]
	v_fmamk_f64 v[30:31], v[22:23], 0xbc91a62633145c00, v[30:31]
	v_add_f64_e64 v[36:37], v[36:37], -v[30:31]
	s_delay_alu instid0(VALU_DEP_3) | instskip(SKIP_1) | instid1(VALU_DEP_2)
	v_add_f64_e32 v[38:39], v[38:39], v[34:35]
	v_fmamk_f64 v[34:35], v[22:23], 0x3c91a62633145c00, v[34:35]
	v_add_f64_e32 v[36:37], v[36:37], v[38:39]
	s_delay_alu instid0(VALU_DEP_1) | instskip(NEXT) | instid1(VALU_DEP_1)
	v_add_f64_e64 v[34:35], v[36:37], -v[34:35]
	v_fmamk_f64 v[34:35], v[22:23], 0xb97b839a252049c0, v[34:35]
	s_delay_alu instid0(VALU_DEP_1) | instskip(NEXT) | instid1(VALU_DEP_1)
	v_add_f64_e32 v[36:37], v[30:31], v[34:35]
	v_add_f64_e64 v[30:31], v[36:37], -v[30:31]
	s_delay_alu instid0(VALU_DEP_1)
	v_add_f64_e64 v[38:39], v[34:35], -v[30:31]
.LBB0_32:
	v_max_num_f64_e64 v[22:23], |v[26:27]|, |v[26:27]|
	v_max_num_f64_e64 v[30:31], |v[6:7]|, |v[6:7]|
	s_mov_b64 s[4:5], 0x3eeba404b5e68a13
	s_mov_b64 s[14:15], 0x400921fb54442d18
	v_cmp_eq_f64_e64 s3, 0, v[26:27]
	v_cmp_class_f64_e64 s11, v[26:27], 0x204
	v_cmp_class_f64_e64 s13, v[6:7], 0x204
                                        ; implicit-def: $vgpr87
                                        ; implicit-def: $vgpr50_vgpr51
                                        ; implicit-def: $vgpr52_vgpr53
	v_ashrrev_i32_e32 v4, 31, v7
	s_delay_alu instid0(VALU_DEP_1) | instskip(SKIP_3) | instid1(VALU_DEP_1)
	v_and_b32_e32 v5, 0x400921fb, v4
	v_and_b32_e32 v4, 0x54442d18, v4
	v_max_num_f64_e32 v[34:35], v[30:31], v[22:23]
	v_min_num_f64_e32 v[22:23], v[30:31], v[22:23]
	v_div_scale_f64 v[30:31], null, v[34:35], v[34:35], v[22:23]
	v_div_scale_f64 v[44:45], vcc_lo, v[22:23], v[34:35], v[22:23]
	s_delay_alu instid0(VALU_DEP_2) | instskip(SKIP_1) | instid1(TRANS32_DEP_1)
	v_rcp_f64_e32 v[40:41], v[30:31]
	v_nop
	v_fma_f64 v[42:43], -v[30:31], v[40:41], 1.0
	s_delay_alu instid0(VALU_DEP_1) | instskip(NEXT) | instid1(VALU_DEP_1)
	v_fmac_f64_e32 v[40:41], v[40:41], v[42:43]
	v_fma_f64 v[42:43], -v[30:31], v[40:41], 1.0
	s_delay_alu instid0(VALU_DEP_1) | instskip(NEXT) | instid1(VALU_DEP_1)
	v_fmac_f64_e32 v[40:41], v[40:41], v[42:43]
	v_mul_f64_e32 v[42:43], v[44:45], v[40:41]
	s_delay_alu instid0(VALU_DEP_1) | instskip(NEXT) | instid1(VALU_DEP_1)
	v_fma_f64 v[30:31], -v[30:31], v[42:43], v[44:45]
	v_div_fmas_f64 v[30:31], v[30:31], v[40:41], v[42:43]
	v_cmp_lt_f64_e64 vcc_lo, |v[6:7]|, |v[26:27]|
	s_delay_alu instid0(VALU_DEP_2) | instskip(NEXT) | instid1(VALU_DEP_1)
	v_div_fixup_f64 v[22:23], v[30:31], v[34:35], v[22:23]
	v_mul_f64_e32 v[30:31], v[22:23], v[22:23]
	s_delay_alu instid0(VALU_DEP_1) | instskip(SKIP_1) | instid1(VALU_DEP_1)
	v_fmaak_f64 v[34:35], s[4:5], v[30:31], 0xbf23e260bd3237f4
	s_mov_b64 s[4:5], 0x3ff921fb54442d18
	v_fmaak_f64 v[34:35], v[30:31], v[34:35], 0x3f4b2bb069efb384
	s_delay_alu instid0(VALU_DEP_1) | instskip(NEXT) | instid1(VALU_DEP_1)
	v_fmaak_f64 v[34:35], v[30:31], v[34:35], 0xbf67952daf56de9b
	v_fmaak_f64 v[34:35], v[30:31], v[34:35], 0x3f7d6d43a595c56f
	s_delay_alu instid0(VALU_DEP_1) | instskip(NEXT) | instid1(VALU_DEP_1)
	v_fmaak_f64 v[34:35], v[30:31], v[34:35], 0xbf8c6ea4a57d9582
	;; [unrolled: 3-line block ×9, first 2 shown]
	v_mul_f64_e32 v[30:31], v[30:31], v[34:35]
	s_delay_alu instid0(VALU_DEP_1) | instskip(NEXT) | instid1(VALU_DEP_1)
	v_fmac_f64_e32 v[22:23], v[22:23], v[30:31]
	v_add_f64_e64 v[30:31], -v[22:23], s[4:5]
	s_delay_alu instid0(VALU_DEP_1) | instskip(SKIP_1) | instid1(VALU_DEP_2)
	v_dual_cndmask_b32 v23, v23, v31 :: v_dual_cndmask_b32 v22, v22, v30
	v_cmp_gt_i32_e32 vcc_lo, 0, v7
	v_add_f64_e64 v[30:31], -v[22:23], s[14:15]
	s_delay_alu instid0(VALU_DEP_1) | instskip(NEXT) | instid1(VALU_DEP_2)
	v_dual_mov_b32 v0, 0x7f3321d2 :: v_dual_cndmask_b32 v23, v23, v31
	v_dual_mov_b32 v31, 0x4002d97c :: v_dual_cndmask_b32 v22, v22, v30
	s_delay_alu instid0(VALU_DEP_2) | instskip(NEXT) | instid1(VALU_DEP_3)
	v_cndmask_b32_e32 v0, 0x54442d18, v0, vcc_lo
	v_cndmask_b32_e64 v5, v23, v5, s3
	s_delay_alu instid0(VALU_DEP_3) | instskip(NEXT) | instid1(VALU_DEP_4)
	v_cndmask_b32_e32 v30, 0x3fe921fb, v31, vcc_lo
	v_cndmask_b32_e64 v4, v22, v4, s3
	s_and_b32 vcc_lo, s11, s13
	s_delay_alu instid0(VALU_DEP_2) | instskip(NEXT) | instid1(VALU_DEP_1)
	v_bfi_b32 v22, 0x7fffffff, v30, v27
	v_dual_cndmask_b32 v0, v4, v0, vcc_lo :: v_dual_cndmask_b32 v4, v5, v22, vcc_lo
	v_cmp_o_f64_e32 vcc_lo, v[6:7], v[26:27]
	s_delay_alu instid0(VALU_DEP_2) | instskip(NEXT) | instid1(VALU_DEP_3)
	v_cndmask_b32_e32 v5, 0x7ff80000, v4, vcc_lo
	v_cndmask_b32_e32 v4, 0, v0, vcc_lo
	s_delay_alu instid0(VALU_DEP_2) | instskip(NEXT) | instid1(VALU_DEP_2)
	v_and_b32_e32 v80, 0x7fffffff, v5
	v_cmp_ngt_f64_e64 s3, 0x41d00000, |v[4:5]|
	v_trig_preop_f64 v[34:35], |v[4:5]|, 0
	v_trig_preop_f64 v[30:31], |v[4:5]|, 1
	v_ldexp_f64 v[70:71], |v[4:5]|, 0xffffff80
	v_trig_preop_f64 v[6:7], |v[4:5]|, 2
	v_mov_b64_e32 v[114:115], v[4:5]
	s_mov_b32 s11, exec_lo
	v_mov_b64_e32 v[112:113], v[66:67]
	s_and_b32 s13, s11, s3
	s_delay_alu instid0(SALU_CYCLE_1)
	s_xor_b32 s11, s13, s11
	s_mov_b32 exec_lo, s13
	s_cbranch_execz .LBB0_36
; %bb.33:
	v_mov_b64_e32 v[4:5], v[114:115]
	v_mov_b32_e32 v58, 0
	s_delay_alu instid0(VALU_DEP_2) | instskip(SKIP_2) | instid1(VALU_DEP_1)
	v_cmp_le_f64_e64 vcc_lo, 0x7b000000, |v[4:5]|
	v_cndmask_b32_e32 v23, v80, v71, vcc_lo
	v_cndmask_b32_e32 v22, v4, v70, vcc_lo
	v_mul_f64_e32 v[40:41], v[34:35], v[22:23]
	v_mul_f64_e32 v[42:43], v[30:31], v[22:23]
	s_delay_alu instid0(VALU_DEP_2) | instskip(NEXT) | instid1(VALU_DEP_1)
	v_fma_f64 v[44:45], v[34:35], v[22:23], -v[40:41]
	v_add_f64_e32 v[46:47], v[42:43], v[44:45]
	s_delay_alu instid0(VALU_DEP_1) | instskip(SKIP_1) | instid1(VALU_DEP_2)
	v_add_f64_e64 v[48:49], v[46:47], -v[42:43]
	v_add_f64_e32 v[52:53], v[40:41], v[46:47]
	v_add_f64_e64 v[50:51], v[46:47], -v[48:49]
	v_fma_f64 v[56:57], v[30:31], v[22:23], -v[42:43]
	v_add_f64_e64 v[44:45], v[44:45], -v[48:49]
	s_delay_alu instid0(VALU_DEP_4) | instskip(SKIP_2) | instid1(VALU_DEP_3)
	v_ldexp_f64 v[48:49], v[52:53], -2
	v_mul_f64_e32 v[54:55], v[6:7], v[22:23]
	v_add_f64_e64 v[42:43], v[42:43], -v[50:51]
	v_cmp_neq_f64_e64 vcc_lo, 0x7ff00000, |v[48:49]|
	s_delay_alu instid0(VALU_DEP_3) | instskip(SKIP_1) | instid1(VALU_DEP_4)
	v_add_f64_e32 v[50:51], v[54:55], v[56:57]
	v_fma_f64 v[22:23], v[6:7], v[22:23], -v[54:55]
	v_add_f64_e32 v[42:43], v[44:45], v[42:43]
	v_fract_f64_e32 v[44:45], v[48:49]
	s_delay_alu instid0(VALU_DEP_1) | instskip(NEXT) | instid1(VALU_DEP_1)
	v_ldexp_f64 v[44:45], v[44:45], 2
	v_cndmask_b32_e32 v45, 0, v45, vcc_lo
	v_add_f64_e64 v[40:41], v[52:53], -v[40:41]
	s_delay_alu instid0(VALU_DEP_3) | instskip(NEXT) | instid1(VALU_DEP_2)
	v_cndmask_b32_e32 v44, 0, v44, vcc_lo
	v_add_f64_e64 v[40:41], v[46:47], -v[40:41]
	v_add_f64_e32 v[46:47], v[50:51], v[42:43]
	s_delay_alu instid0(VALU_DEP_1) | instskip(SKIP_1) | instid1(VALU_DEP_2)
	v_add_f64_e32 v[48:49], v[40:41], v[46:47]
	v_add_f64_e64 v[60:61], v[46:47], -v[50:51]
	v_add_f64_e32 v[52:53], v[48:49], v[44:45]
	s_delay_alu instid0(VALU_DEP_2) | instskip(SKIP_2) | instid1(VALU_DEP_4)
	v_add_f64_e64 v[72:73], v[46:47], -v[60:61]
	v_add_f64_e64 v[42:43], v[42:43], -v[60:61]
	;; [unrolled: 1-line block ×3, first 2 shown]
	v_cmp_gt_f64_e32 vcc_lo, 0, v[52:53]
	v_add_f64_e64 v[52:53], v[50:51], -v[54:55]
	s_delay_alu instid0(VALU_DEP_3) | instskip(SKIP_1) | instid1(VALU_DEP_3)
	v_add_f64_e64 v[40:41], v[46:47], -v[40:41]
	v_cndmask_b32_e64 v59, 0, 0x40100000, vcc_lo
	v_add_f64_e64 v[68:69], v[50:51], -v[52:53]
	v_add_f64_e64 v[52:53], v[56:57], -v[52:53]
	;; [unrolled: 1-line block ×3, first 2 shown]
	s_delay_alu instid0(VALU_DEP_4) | instskip(NEXT) | instid1(VALU_DEP_4)
	v_add_f64_e32 v[44:45], v[44:45], v[58:59]
	v_add_f64_e64 v[56:57], v[54:55], -v[68:69]
	s_delay_alu instid0(VALU_DEP_3) | instskip(NEXT) | instid1(VALU_DEP_3)
	v_add_f64_e32 v[42:43], v[42:43], v[50:51]
	v_add_f64_e32 v[66:67], v[48:49], v[44:45]
	s_delay_alu instid0(VALU_DEP_3) | instskip(NEXT) | instid1(VALU_DEP_2)
	v_add_f64_e32 v[52:53], v[52:53], v[56:57]
	v_cvt_i32_f64_e32 v0, v[66:67]
	v_mov_b64_e32 v[66:67], v[112:113]
	s_delay_alu instid0(VALU_DEP_3) | instskip(NEXT) | instid1(VALU_DEP_3)
	v_add_f64_e32 v[42:43], v[52:53], v[42:43]
	v_cvt_f64_i32_e32 v[60:61], v0
	s_delay_alu instid0(VALU_DEP_2) | instskip(NEXT) | instid1(VALU_DEP_2)
	v_add_f64_e32 v[22:23], v[22:23], v[42:43]
	v_add_f64_e64 v[44:45], v[44:45], -v[60:61]
	s_delay_alu instid0(VALU_DEP_2) | instskip(NEXT) | instid1(VALU_DEP_2)
	v_add_f64_e32 v[22:23], v[40:41], v[22:23]
	v_add_f64_e32 v[50:51], v[48:49], v[44:45]
	s_delay_alu instid0(VALU_DEP_1) | instskip(SKIP_1) | instid1(VALU_DEP_2)
	v_add_f64_e64 v[42:43], v[50:51], -v[44:45]
	v_cmp_le_f64_e32 vcc_lo, 0.5, v[50:51]
	v_add_f64_e64 v[40:41], v[48:49], -v[42:43]
	v_cndmask_b32_e64 v59, 0, 0x3ff00000, vcc_lo
	v_add_co_ci_u32_e64 v87, null, 0, v0, vcc_lo
	s_delay_alu instid0(VALU_DEP_3) | instskip(NEXT) | instid1(VALU_DEP_3)
	v_add_f64_e32 v[22:23], v[22:23], v[40:41]
	v_add_f64_e64 v[40:41], v[50:51], -v[58:59]
	s_delay_alu instid0(VALU_DEP_1) | instskip(NEXT) | instid1(VALU_DEP_1)
	v_add_f64_e32 v[42:43], v[40:41], v[22:23]
	v_mul_f64_e32 v[44:45], 0x3ff921fb54442d18, v[42:43]
	v_add_f64_e64 v[40:41], v[42:43], -v[40:41]
	s_delay_alu instid0(VALU_DEP_2) | instskip(NEXT) | instid1(VALU_DEP_2)
	v_fma_f64 v[46:47], v[42:43], s[4:5], -v[44:45]
	v_add_f64_e64 v[22:23], v[22:23], -v[40:41]
	s_delay_alu instid0(VALU_DEP_2) | instskip(NEXT) | instid1(VALU_DEP_1)
	v_fmamk_f64 v[40:41], v[42:43], 0x3c91a62633145c07, v[46:47]
	v_fmac_f64_e32 v[40:41], 0x3ff921fb54442d18, v[22:23]
	s_delay_alu instid0(VALU_DEP_1) | instskip(NEXT) | instid1(VALU_DEP_1)
	v_add_f64_e32 v[50:51], v[44:45], v[40:41]
	v_add_f64_e64 v[22:23], v[50:51], -v[44:45]
	s_delay_alu instid0(VALU_DEP_1)
	v_add_f64_e64 v[52:53], v[40:41], -v[22:23]
	s_and_not1_saveexec_b32 s4, s11
	s_cbranch_execnz .LBB0_37
.LBB0_34:
	s_or_b32 exec_lo, exec_lo, s4
	s_delay_alu instid0(SALU_CYCLE_1)
	s_and_b32 vcc_lo, exec_lo, s10
	s_cbranch_vccz .LBB0_38
.LBB0_35:
	v_cmp_le_f64_e64 vcc_lo, 0x7b000000, |s[6:7]|
	s_and_b32 s4, s7, 0x7fffffff
	s_mov_b64 s[14:15], 0x3ff921fb54442d18
	v_cndmask_b32_e32 v23, s4, v29, vcc_lo
	v_cndmask_b32_e32 v22, s6, v28, vcc_lo
	s_mov_b32 s4, 0
	s_delay_alu instid0(VALU_DEP_1) | instskip(SKIP_1) | instid1(VALU_DEP_2)
	v_mul_f64_e32 v[40:41], v[12:13], v[22:23]
	v_mul_f64_e32 v[42:43], v[10:11], v[22:23]
	v_fma_f64 v[44:45], v[12:13], v[22:23], -v[40:41]
	s_delay_alu instid0(VALU_DEP_1) | instskip(NEXT) | instid1(VALU_DEP_1)
	v_add_f64_e32 v[46:47], v[42:43], v[44:45]
	v_add_f64_e64 v[48:49], v[46:47], -v[42:43]
	v_add_f64_e32 v[56:57], v[40:41], v[46:47]
	v_fma_f64 v[60:61], v[10:11], v[22:23], -v[42:43]
	v_mul_f64_e32 v[58:59], v[8:9], v[22:23]
	s_delay_alu instid0(VALU_DEP_4) | instskip(SKIP_2) | instid1(VALU_DEP_4)
	v_add_f64_e64 v[54:55], v[46:47], -v[48:49]
	v_add_f64_e64 v[44:45], v[44:45], -v[48:49]
	v_ldexp_f64 v[48:49], v[56:57], -2
	v_fma_f64 v[22:23], v[8:9], v[22:23], -v[58:59]
	s_delay_alu instid0(VALU_DEP_4) | instskip(SKIP_1) | instid1(VALU_DEP_4)
	v_add_f64_e64 v[42:43], v[42:43], -v[54:55]
	v_add_f64_e32 v[54:55], v[58:59], v[60:61]
	v_cmp_neq_f64_e64 vcc_lo, 0x7ff00000, |v[48:49]|
	s_delay_alu instid0(VALU_DEP_3) | instskip(SKIP_1) | instid1(VALU_DEP_1)
	v_add_f64_e32 v[42:43], v[44:45], v[42:43]
	v_fract_f64_e32 v[44:45], v[48:49]
	v_ldexp_f64 v[44:45], v[44:45], 2
	s_delay_alu instid0(VALU_DEP_1) | instskip(SKIP_1) | instid1(VALU_DEP_3)
	v_cndmask_b32_e32 v45, 0, v45, vcc_lo
	v_add_f64_e64 v[40:41], v[56:57], -v[40:41]
	v_cndmask_b32_e32 v44, 0, v44, vcc_lo
	s_delay_alu instid0(VALU_DEP_2) | instskip(SKIP_1) | instid1(VALU_DEP_1)
	v_add_f64_e64 v[40:41], v[46:47], -v[40:41]
	v_add_f64_e32 v[46:47], v[54:55], v[42:43]
	v_add_f64_e32 v[48:49], v[40:41], v[46:47]
	v_add_f64_e64 v[66:67], v[46:47], -v[54:55]
	s_delay_alu instid0(VALU_DEP_2) | instskip(NEXT) | instid1(VALU_DEP_2)
	v_add_f64_e32 v[56:57], v[48:49], v[44:45]
	v_add_f64_e64 v[74:75], v[46:47], -v[66:67]
	v_add_f64_e64 v[42:43], v[42:43], -v[66:67]
	;; [unrolled: 1-line block ×3, first 2 shown]
	s_delay_alu instid0(VALU_DEP_4) | instskip(SKIP_1) | instid1(VALU_DEP_3)
	v_cmp_gt_f64_e32 vcc_lo, 0, v[56:57]
	v_add_f64_e64 v[56:57], v[54:55], -v[58:59]
	v_add_f64_e64 v[40:41], v[46:47], -v[40:41]
	s_and_b32 s5, vcc_lo, exec_lo
	s_cselect_b32 s5, 0x40100000, 0
	s_delay_alu instid0(VALU_DEP_2) | instskip(SKIP_3) | instid1(VALU_DEP_4)
	v_add_f64_e64 v[72:73], v[54:55], -v[56:57]
	v_add_f64_e32 v[44:45], s[4:5], v[44:45]
	v_add_f64_e64 v[56:57], v[60:61], -v[56:57]
	v_add_f64_e64 v[54:55], v[54:55], -v[74:75]
	;; [unrolled: 1-line block ×3, first 2 shown]
	s_delay_alu instid0(VALU_DEP_4) | instskip(NEXT) | instid1(VALU_DEP_3)
	v_add_f64_e32 v[68:69], v[48:49], v[44:45]
	v_add_f64_e32 v[42:43], v[42:43], v[54:55]
	s_delay_alu instid0(VALU_DEP_3) | instskip(NEXT) | instid1(VALU_DEP_3)
	v_add_f64_e32 v[56:57], v[56:57], v[60:61]
	v_cvt_i32_f64_e32 v0, v[68:69]
	s_delay_alu instid0(VALU_DEP_2) | instskip(NEXT) | instid1(VALU_DEP_2)
	v_add_f64_e32 v[42:43], v[56:57], v[42:43]
	v_cvt_f64_i32_e32 v[66:67], v0
	s_delay_alu instid0(VALU_DEP_2) | instskip(NEXT) | instid1(VALU_DEP_2)
	v_add_f64_e32 v[22:23], v[22:23], v[42:43]
	v_add_f64_e64 v[44:45], v[44:45], -v[66:67]
	v_mov_b64_e32 v[66:67], v[112:113]
	s_delay_alu instid0(VALU_DEP_3) | instskip(NEXT) | instid1(VALU_DEP_3)
	v_add_f64_e32 v[22:23], v[40:41], v[22:23]
	v_add_f64_e32 v[54:55], v[48:49], v[44:45]
	s_delay_alu instid0(VALU_DEP_1) | instskip(SKIP_1) | instid1(VALU_DEP_2)
	v_add_f64_e64 v[42:43], v[54:55], -v[44:45]
	v_cmp_le_f64_e32 vcc_lo, 0.5, v[54:55]
	v_add_f64_e64 v[40:41], v[48:49], -v[42:43]
	s_and_b32 s5, vcc_lo, exec_lo
	s_cselect_b32 s5, 0x3ff00000, 0
	v_add_co_ci_u32_e64 v83, null, 0, v0, vcc_lo
	s_delay_alu instid0(VALU_DEP_2) | instskip(SKIP_1) | instid1(VALU_DEP_1)
	v_add_f64_e32 v[22:23], v[22:23], v[40:41]
	v_add_f64_e64 v[40:41], v[54:55], -s[4:5]
	v_add_f64_e32 v[42:43], v[40:41], v[22:23]
	s_delay_alu instid0(VALU_DEP_1) | instskip(SKIP_1) | instid1(VALU_DEP_2)
	v_mul_f64_e32 v[44:45], 0x3ff921fb54442d18, v[42:43]
	v_add_f64_e64 v[40:41], v[42:43], -v[40:41]
	v_fma_f64 v[46:47], v[42:43], s[14:15], -v[44:45]
	s_delay_alu instid0(VALU_DEP_2) | instskip(NEXT) | instid1(VALU_DEP_2)
	v_add_f64_e64 v[22:23], v[22:23], -v[40:41]
	v_fmamk_f64 v[40:41], v[42:43], 0x3c91a62633145c07, v[46:47]
	s_delay_alu instid0(VALU_DEP_1) | instskip(NEXT) | instid1(VALU_DEP_1)
	v_fmac_f64_e32 v[40:41], 0x3ff921fb54442d18, v[22:23]
	v_add_f64_e32 v[22:23], v[44:45], v[40:41]
	s_delay_alu instid0(VALU_DEP_1) | instskip(NEXT) | instid1(VALU_DEP_1)
	v_add_f64_e64 v[42:43], v[22:23], -v[44:45]
	v_add_f64_e64 v[40:41], v[40:41], -v[42:43]
	s_cbranch_execz .LBB0_39
	s_branch .LBB0_40
.LBB0_36:
	s_and_not1_saveexec_b32 s4, s11
	s_cbranch_execz .LBB0_34
.LBB0_37:
	v_mov_b64_e32 v[4:5], v[114:115]
	s_mov_b64 s[14:15], 0x3fe45f306dc9c883
	s_delay_alu instid0(VALU_DEP_1) | instid1(SALU_CYCLE_1)
	v_mul_f64_e64 v[22:23], |v[4:5]|, s[14:15]
	s_mov_b64 s[14:15], 0xbff921fb54442d18
	s_delay_alu instid0(VALU_DEP_1) | instskip(NEXT) | instid1(VALU_DEP_1)
	v_rndne_f64_e32 v[22:23], v[22:23]
	v_fma_f64 v[40:41], v[22:23], s[14:15], |v[4:5]|
	v_mul_f64_e32 v[42:43], 0xbc91a62633145c00, v[22:23]
	v_cvt_i32_f64_e32 v87, v[22:23]
	s_delay_alu instid0(VALU_DEP_2) | instskip(NEXT) | instid1(VALU_DEP_1)
	v_add_f64_e32 v[44:45], v[40:41], v[42:43]
	v_add_f64_e64 v[46:47], v[40:41], -v[44:45]
	v_fmamk_f64 v[40:41], v[22:23], 0xbc91a62633145c00, v[40:41]
	s_delay_alu instid0(VALU_DEP_1) | instskip(NEXT) | instid1(VALU_DEP_3)
	v_add_f64_e64 v[44:45], v[44:45], -v[40:41]
	v_add_f64_e32 v[46:47], v[46:47], v[42:43]
	v_fmamk_f64 v[42:43], v[22:23], 0x3c91a62633145c00, v[42:43]
	s_delay_alu instid0(VALU_DEP_2) | instskip(NEXT) | instid1(VALU_DEP_1)
	v_add_f64_e32 v[44:45], v[44:45], v[46:47]
	v_add_f64_e64 v[42:43], v[44:45], -v[42:43]
	s_delay_alu instid0(VALU_DEP_1) | instskip(NEXT) | instid1(VALU_DEP_1)
	v_fmamk_f64 v[42:43], v[22:23], 0xb97b839a252049c0, v[42:43]
	v_add_f64_e32 v[50:51], v[40:41], v[42:43]
	s_delay_alu instid0(VALU_DEP_1) | instskip(NEXT) | instid1(VALU_DEP_1)
	v_add_f64_e64 v[40:41], v[50:51], -v[40:41]
	v_add_f64_e64 v[52:53], v[42:43], -v[40:41]
	s_or_b32 exec_lo, exec_lo, s4
	s_delay_alu instid0(SALU_CYCLE_1)
	s_and_b32 vcc_lo, exec_lo, s10
	s_cbranch_vccnz .LBB0_35
.LBB0_38:
                                        ; implicit-def: $vgpr83
                                        ; implicit-def: $vgpr22_vgpr23
                                        ; implicit-def: $vgpr40_vgpr41
.LBB0_39:
	s_mov_b64 s[4:5], 0x3fe45f306dc9c883
	s_delay_alu instid0(SALU_CYCLE_1) | instskip(SKIP_1) | instid1(VALU_DEP_1)
	v_mul_f64_e64 v[22:23], |s[6:7]|, s[4:5]
	s_mov_b64 s[4:5], 0xbff921fb54442d18
	v_rndne_f64_e32 v[42:43], v[22:23]
	s_delay_alu instid0(VALU_DEP_1) | instskip(SKIP_2) | instid1(VALU_DEP_3)
	v_fma_f64 v[22:23], v[42:43], s[4:5], |s[6:7]|
	v_mul_f64_e32 v[40:41], 0xbc91a62633145c00, v[42:43]
	v_cvt_i32_f64_e32 v83, v[42:43]
	v_fmamk_f64 v[48:49], v[42:43], 0xbc91a62633145c00, v[22:23]
	s_delay_alu instid0(VALU_DEP_3) | instskip(NEXT) | instid1(VALU_DEP_1)
	v_add_f64_e32 v[44:45], v[22:23], v[40:41]
	v_add_f64_e64 v[46:47], v[22:23], -v[44:45]
	s_delay_alu instid0(VALU_DEP_3) | instskip(NEXT) | instid1(VALU_DEP_2)
	v_add_f64_e64 v[22:23], v[44:45], -v[48:49]
	v_add_f64_e32 v[44:45], v[46:47], v[40:41]
	v_fmamk_f64 v[40:41], v[42:43], 0x3c91a62633145c00, v[40:41]
	s_delay_alu instid0(VALU_DEP_2) | instskip(NEXT) | instid1(VALU_DEP_1)
	v_add_f64_e32 v[22:23], v[22:23], v[44:45]
	v_add_f64_e64 v[22:23], v[22:23], -v[40:41]
	s_delay_alu instid0(VALU_DEP_1) | instskip(NEXT) | instid1(VALU_DEP_1)
	v_fmamk_f64 v[40:41], v[42:43], 0xb97b839a252049c0, v[22:23]
	v_add_f64_e32 v[22:23], v[48:49], v[40:41]
	s_delay_alu instid0(VALU_DEP_1) | instskip(NEXT) | instid1(VALU_DEP_1)
	v_add_f64_e64 v[44:45], v[22:23], -v[48:49]
	v_add_f64_e64 v[40:41], v[40:41], -v[44:45]
.LBB0_40:
                                        ; implicit-def: $vgpr84
                                        ; implicit-def: $vgpr42_vgpr43
                                        ; implicit-def: $vgpr44_vgpr45
	s_and_saveexec_b32 s4, s12
	s_delay_alu instid0(SALU_CYCLE_1)
	s_xor_b32 s4, exec_lo, s4
	s_cbranch_execz .LBB0_42
; %bb.41:
	v_cmp_le_f64_e64 vcc_lo, 0x7b000000, |v[66:67]|
	s_mov_b64 s[14:15], 0x3ff921fb54442d18
	v_dual_mov_b32 v72, 0 :: v_dual_cndmask_b32 v43, v1, v65
	v_cndmask_b32_e32 v42, v66, v64, vcc_lo
	s_delay_alu instid0(VALU_DEP_1) | instskip(SKIP_2) | instid1(VALU_DEP_3)
	v_mul_f64_e32 v[44:45], v[62:63], v[42:43]
	v_mul_f64_e32 v[46:47], v[32:33], v[42:43]
	;; [unrolled: 1-line block ×3, first 2 shown]
	v_fma_f64 v[48:49], v[62:63], v[42:43], -v[44:45]
	s_delay_alu instid0(VALU_DEP_3) | instskip(NEXT) | instid1(VALU_DEP_3)
	v_fma_f64 v[68:69], v[32:33], v[42:43], -v[46:47]
	v_fma_f64 v[42:43], v[2:3], v[42:43], -v[66:67]
	s_delay_alu instid0(VALU_DEP_3) | instskip(NEXT) | instid1(VALU_DEP_1)
	v_add_f64_e32 v[54:55], v[46:47], v[48:49]
	v_add_f64_e64 v[56:57], v[54:55], -v[46:47]
	v_add_f64_e32 v[60:61], v[44:45], v[54:55]
	s_delay_alu instid0(VALU_DEP_2) | instskip(SKIP_1) | instid1(VALU_DEP_3)
	v_add_f64_e64 v[58:59], v[54:55], -v[56:57]
	v_add_f64_e64 v[48:49], v[48:49], -v[56:57]
	v_ldexp_f64 v[56:57], v[60:61], -2
	s_delay_alu instid0(VALU_DEP_3) | instskip(SKIP_1) | instid1(VALU_DEP_3)
	v_add_f64_e64 v[46:47], v[46:47], -v[58:59]
	v_add_f64_e32 v[58:59], v[66:67], v[68:69]
	v_cmp_neq_f64_e64 vcc_lo, 0x7ff00000, |v[56:57]|
	s_delay_alu instid0(VALU_DEP_3) | instskip(SKIP_1) | instid1(VALU_DEP_1)
	v_add_f64_e32 v[46:47], v[48:49], v[46:47]
	v_fract_f64_e32 v[48:49], v[56:57]
	v_ldexp_f64 v[48:49], v[48:49], 2
	s_delay_alu instid0(VALU_DEP_1) | instskip(SKIP_1) | instid1(VALU_DEP_3)
	v_cndmask_b32_e32 v49, 0, v49, vcc_lo
	v_add_f64_e64 v[44:45], v[60:61], -v[44:45]
	v_cndmask_b32_e32 v48, 0, v48, vcc_lo
	s_delay_alu instid0(VALU_DEP_2) | instskip(SKIP_1) | instid1(VALU_DEP_1)
	v_add_f64_e64 v[44:45], v[54:55], -v[44:45]
	v_add_f64_e32 v[54:55], v[58:59], v[46:47]
	v_add_f64_e32 v[56:57], v[44:45], v[54:55]
	v_add_f64_e64 v[74:75], v[54:55], -v[58:59]
	s_delay_alu instid0(VALU_DEP_2) | instskip(NEXT) | instid1(VALU_DEP_2)
	v_add_f64_e32 v[60:61], v[56:57], v[48:49]
	v_add_f64_e64 v[88:89], v[54:55], -v[74:75]
	v_add_f64_e64 v[46:47], v[46:47], -v[74:75]
	;; [unrolled: 1-line block ×3, first 2 shown]
	s_delay_alu instid0(VALU_DEP_4) | instskip(SKIP_1) | instid1(VALU_DEP_3)
	v_cmp_gt_f64_e32 vcc_lo, 0, v[60:61]
	v_add_f64_e64 v[60:61], v[58:59], -v[66:67]
	v_add_f64_e64 v[44:45], v[54:55], -v[44:45]
	v_cndmask_b32_e64 v73, 0, 0x40100000, vcc_lo
	s_delay_alu instid0(VALU_DEP_3) | instskip(SKIP_2) | instid1(VALU_DEP_4)
	v_add_f64_e64 v[84:85], v[58:59], -v[60:61]
	v_add_f64_e64 v[60:61], v[68:69], -v[60:61]
	;; [unrolled: 1-line block ×3, first 2 shown]
	v_add_f64_e32 v[48:49], v[48:49], v[72:73]
	s_delay_alu instid0(VALU_DEP_4) | instskip(SKIP_1) | instid1(VALU_DEP_4)
	v_add_f64_e64 v[68:69], v[66:67], -v[84:85]
	v_mov_b64_e32 v[66:67], v[112:113]
	v_add_f64_e32 v[46:47], v[46:47], v[58:59]
	s_delay_alu instid0(VALU_DEP_4) | instskip(NEXT) | instid1(VALU_DEP_4)
	v_add_f64_e32 v[76:77], v[56:57], v[48:49]
	v_add_f64_e32 v[60:61], v[60:61], v[68:69]
	s_delay_alu instid0(VALU_DEP_2) | instskip(NEXT) | instid1(VALU_DEP_2)
	v_cvt_i32_f64_e32 v0, v[76:77]
	v_add_f64_e32 v[46:47], v[60:61], v[46:47]
	s_delay_alu instid0(VALU_DEP_2) | instskip(NEXT) | instid1(VALU_DEP_2)
	v_cvt_f64_i32_e32 v[74:75], v0
	v_add_f64_e32 v[42:43], v[42:43], v[46:47]
	s_delay_alu instid0(VALU_DEP_2) | instskip(NEXT) | instid1(VALU_DEP_2)
	v_add_f64_e64 v[48:49], v[48:49], -v[74:75]
	v_add_f64_e32 v[42:43], v[44:45], v[42:43]
	s_delay_alu instid0(VALU_DEP_2) | instskip(NEXT) | instid1(VALU_DEP_1)
	v_add_f64_e32 v[58:59], v[56:57], v[48:49]
	v_add_f64_e64 v[46:47], v[58:59], -v[48:49]
	v_cmp_le_f64_e32 vcc_lo, 0.5, v[58:59]
	s_delay_alu instid0(VALU_DEP_2) | instskip(SKIP_2) | instid1(VALU_DEP_3)
	v_add_f64_e64 v[44:45], v[56:57], -v[46:47]
	v_cndmask_b32_e64 v73, 0, 0x3ff00000, vcc_lo
	v_add_co_ci_u32_e64 v84, null, 0, v0, vcc_lo
	v_add_f64_e32 v[42:43], v[42:43], v[44:45]
	s_delay_alu instid0(VALU_DEP_3) | instskip(NEXT) | instid1(VALU_DEP_1)
	v_add_f64_e64 v[44:45], v[58:59], -v[72:73]
	v_add_f64_e32 v[46:47], v[44:45], v[42:43]
	s_delay_alu instid0(VALU_DEP_1) | instskip(SKIP_1) | instid1(VALU_DEP_2)
	v_mul_f64_e32 v[48:49], 0x3ff921fb54442d18, v[46:47]
	v_add_f64_e64 v[44:45], v[46:47], -v[44:45]
	v_fma_f64 v[54:55], v[46:47], s[14:15], -v[48:49]
	s_delay_alu instid0(VALU_DEP_2) | instskip(NEXT) | instid1(VALU_DEP_2)
	v_add_f64_e64 v[42:43], v[42:43], -v[44:45]
	v_fmamk_f64 v[44:45], v[46:47], 0x3c91a62633145c07, v[54:55]
	s_delay_alu instid0(VALU_DEP_1) | instskip(NEXT) | instid1(VALU_DEP_1)
	v_fmac_f64_e32 v[44:45], 0x3ff921fb54442d18, v[42:43]
	v_add_f64_e32 v[42:43], v[48:49], v[44:45]
	s_delay_alu instid0(VALU_DEP_1) | instskip(NEXT) | instid1(VALU_DEP_1)
	v_add_f64_e64 v[46:47], v[42:43], -v[48:49]
	v_add_f64_e64 v[44:45], v[44:45], -v[46:47]
	s_and_not1_saveexec_b32 s4, s4
	s_cbranch_execz .LBB0_44
	s_branch .LBB0_43
.LBB0_42:
	s_and_not1_saveexec_b32 s4, s4
	s_cbranch_execz .LBB0_44
.LBB0_43:
	s_mov_b64 s[14:15], 0x3fe45f306dc9c883
	s_delay_alu instid0(SALU_CYCLE_1) | instskip(SKIP_1) | instid1(VALU_DEP_1)
	v_mul_f64_e64 v[42:43], |v[66:67]|, s[14:15]
	s_mov_b64 s[14:15], 0xbff921fb54442d18
	v_rndne_f64_e32 v[46:47], v[42:43]
	s_delay_alu instid0(VALU_DEP_1) | instskip(SKIP_2) | instid1(VALU_DEP_3)
	v_fma_f64 v[42:43], v[46:47], s[14:15], |v[66:67]|
	v_mul_f64_e32 v[44:45], 0xbc91a62633145c00, v[46:47]
	v_cvt_i32_f64_e32 v84, v[46:47]
	v_fmamk_f64 v[56:57], v[46:47], 0xbc91a62633145c00, v[42:43]
	s_delay_alu instid0(VALU_DEP_3) | instskip(NEXT) | instid1(VALU_DEP_1)
	v_add_f64_e32 v[48:49], v[42:43], v[44:45]
	v_add_f64_e64 v[54:55], v[42:43], -v[48:49]
	s_delay_alu instid0(VALU_DEP_3) | instskip(NEXT) | instid1(VALU_DEP_2)
	v_add_f64_e64 v[42:43], v[48:49], -v[56:57]
	v_add_f64_e32 v[48:49], v[54:55], v[44:45]
	v_fmamk_f64 v[44:45], v[46:47], 0x3c91a62633145c00, v[44:45]
	s_delay_alu instid0(VALU_DEP_2) | instskip(NEXT) | instid1(VALU_DEP_1)
	v_add_f64_e32 v[42:43], v[42:43], v[48:49]
	v_add_f64_e64 v[42:43], v[42:43], -v[44:45]
	s_delay_alu instid0(VALU_DEP_1) | instskip(NEXT) | instid1(VALU_DEP_1)
	v_fmamk_f64 v[44:45], v[46:47], 0xb97b839a252049c0, v[42:43]
	v_add_f64_e32 v[42:43], v[56:57], v[44:45]
	s_delay_alu instid0(VALU_DEP_1) | instskip(NEXT) | instid1(VALU_DEP_1)
	v_add_f64_e64 v[48:49], v[42:43], -v[56:57]
	v_add_f64_e64 v[44:45], v[44:45], -v[48:49]
.LBB0_44:
	s_or_b32 exec_lo, exec_lo, s4
                                        ; implicit-def: $vgpr85
                                        ; implicit-def: $vgpr46_vgpr47
                                        ; implicit-def: $vgpr48_vgpr49
	s_and_saveexec_b32 s4, s12
	s_delay_alu instid0(SALU_CYCLE_1)
	s_xor_b32 s4, exec_lo, s4
	s_cbranch_execz .LBB0_48
; %bb.45:
	v_cmp_le_f64_e64 vcc_lo, 0x7b000000, |v[66:67]|
	s_mov_b64 s[14:15], 0x3ff921fb54442d18
	v_dual_mov_b32 v76, 0 :: v_dual_cndmask_b32 v47, v1, v65
	v_cndmask_b32_e32 v46, v66, v64, vcc_lo
	s_delay_alu instid0(VALU_DEP_1) | instskip(SKIP_2) | instid1(VALU_DEP_3)
	v_mul_f64_e32 v[48:49], v[62:63], v[46:47]
	v_mul_f64_e32 v[54:55], v[32:33], v[46:47]
	;; [unrolled: 1-line block ×3, first 2 shown]
	v_fma_f64 v[56:57], v[62:63], v[46:47], -v[48:49]
	s_delay_alu instid0(VALU_DEP_3) | instskip(NEXT) | instid1(VALU_DEP_3)
	v_fma_f64 v[74:75], v[32:33], v[46:47], -v[54:55]
	v_fma_f64 v[46:47], v[2:3], v[46:47], -v[72:73]
	s_delay_alu instid0(VALU_DEP_3) | instskip(NEXT) | instid1(VALU_DEP_1)
	v_add_f64_e32 v[58:59], v[54:55], v[56:57]
	v_add_f64_e64 v[60:61], v[58:59], -v[54:55]
	v_add_f64_e32 v[68:69], v[48:49], v[58:59]
	s_delay_alu instid0(VALU_DEP_2) | instskip(SKIP_1) | instid1(VALU_DEP_3)
	v_add_f64_e64 v[66:67], v[58:59], -v[60:61]
	v_add_f64_e64 v[56:57], v[56:57], -v[60:61]
	v_ldexp_f64 v[60:61], v[68:69], -2
	s_delay_alu instid0(VALU_DEP_3) | instskip(SKIP_1) | instid1(VALU_DEP_3)
	v_add_f64_e64 v[54:55], v[54:55], -v[66:67]
	v_add_f64_e32 v[66:67], v[72:73], v[74:75]
	v_cmp_neq_f64_e64 vcc_lo, 0x7ff00000, |v[60:61]|
	s_delay_alu instid0(VALU_DEP_3) | instskip(SKIP_1) | instid1(VALU_DEP_1)
	v_add_f64_e32 v[54:55], v[56:57], v[54:55]
	v_fract_f64_e32 v[56:57], v[60:61]
	v_ldexp_f64 v[56:57], v[56:57], 2
	s_delay_alu instid0(VALU_DEP_1) | instskip(SKIP_1) | instid1(VALU_DEP_3)
	v_cndmask_b32_e32 v57, 0, v57, vcc_lo
	v_add_f64_e64 v[48:49], v[68:69], -v[48:49]
	v_cndmask_b32_e32 v56, 0, v56, vcc_lo
	s_delay_alu instid0(VALU_DEP_2) | instskip(SKIP_1) | instid1(VALU_DEP_1)
	v_add_f64_e64 v[48:49], v[58:59], -v[48:49]
	v_add_f64_e32 v[58:59], v[66:67], v[54:55]
	v_add_f64_e32 v[60:61], v[48:49], v[58:59]
	v_add_f64_e64 v[88:89], v[58:59], -v[66:67]
	s_delay_alu instid0(VALU_DEP_2) | instskip(NEXT) | instid1(VALU_DEP_2)
	v_add_f64_e32 v[68:69], v[60:61], v[56:57]
	v_add_f64_e64 v[94:95], v[58:59], -v[88:89]
	v_add_f64_e64 v[54:55], v[54:55], -v[88:89]
	;; [unrolled: 1-line block ×3, first 2 shown]
	s_delay_alu instid0(VALU_DEP_4) | instskip(SKIP_1) | instid1(VALU_DEP_3)
	v_cmp_gt_f64_e32 vcc_lo, 0, v[68:69]
	v_add_f64_e64 v[68:69], v[66:67], -v[72:73]
	v_add_f64_e64 v[48:49], v[58:59], -v[48:49]
	v_cndmask_b32_e64 v77, 0, 0x40100000, vcc_lo
	s_delay_alu instid0(VALU_DEP_3) | instskip(SKIP_2) | instid1(VALU_DEP_4)
	v_add_f64_e64 v[92:93], v[66:67], -v[68:69]
	v_add_f64_e64 v[68:69], v[74:75], -v[68:69]
	;; [unrolled: 1-line block ×3, first 2 shown]
	v_add_f64_e32 v[56:57], v[56:57], v[76:77]
	s_delay_alu instid0(VALU_DEP_4) | instskip(NEXT) | instid1(VALU_DEP_3)
	v_add_f64_e64 v[74:75], v[72:73], -v[92:93]
	v_add_f64_e32 v[54:55], v[54:55], v[66:67]
	s_delay_alu instid0(VALU_DEP_3) | instskip(NEXT) | instid1(VALU_DEP_3)
	v_add_f64_e32 v[90:91], v[60:61], v[56:57]
	v_add_f64_e32 v[68:69], v[68:69], v[74:75]
	s_delay_alu instid0(VALU_DEP_2) | instskip(NEXT) | instid1(VALU_DEP_2)
	v_cvt_i32_f64_e32 v0, v[90:91]
	v_add_f64_e32 v[54:55], v[68:69], v[54:55]
	s_delay_alu instid0(VALU_DEP_2) | instskip(NEXT) | instid1(VALU_DEP_2)
	v_cvt_f64_i32_e32 v[88:89], v0
	v_add_f64_e32 v[46:47], v[46:47], v[54:55]
	s_delay_alu instid0(VALU_DEP_2) | instskip(NEXT) | instid1(VALU_DEP_2)
	v_add_f64_e64 v[56:57], v[56:57], -v[88:89]
	v_add_f64_e32 v[46:47], v[48:49], v[46:47]
	s_delay_alu instid0(VALU_DEP_2) | instskip(NEXT) | instid1(VALU_DEP_1)
	v_add_f64_e32 v[66:67], v[60:61], v[56:57]
	v_add_f64_e64 v[54:55], v[66:67], -v[56:57]
	v_cmp_le_f64_e32 vcc_lo, 0.5, v[66:67]
	s_delay_alu instid0(VALU_DEP_2) | instskip(SKIP_2) | instid1(VALU_DEP_3)
	v_add_f64_e64 v[48:49], v[60:61], -v[54:55]
	v_cndmask_b32_e64 v77, 0, 0x3ff00000, vcc_lo
	v_add_co_ci_u32_e64 v85, null, 0, v0, vcc_lo
	v_add_f64_e32 v[46:47], v[46:47], v[48:49]
	s_delay_alu instid0(VALU_DEP_3) | instskip(SKIP_1) | instid1(VALU_DEP_2)
	v_add_f64_e64 v[48:49], v[66:67], -v[76:77]
	v_mov_b64_e32 v[66:67], v[112:113]
	v_add_f64_e32 v[54:55], v[48:49], v[46:47]
	s_delay_alu instid0(VALU_DEP_1) | instskip(SKIP_1) | instid1(VALU_DEP_2)
	v_mul_f64_e32 v[56:57], 0x3ff921fb54442d18, v[54:55]
	v_add_f64_e64 v[48:49], v[54:55], -v[48:49]
	v_fma_f64 v[58:59], v[54:55], s[14:15], -v[56:57]
	s_delay_alu instid0(VALU_DEP_2) | instskip(NEXT) | instid1(VALU_DEP_2)
	v_add_f64_e64 v[46:47], v[46:47], -v[48:49]
	v_fmamk_f64 v[48:49], v[54:55], 0x3c91a62633145c07, v[58:59]
	s_delay_alu instid0(VALU_DEP_1) | instskip(NEXT) | instid1(VALU_DEP_1)
	v_fmac_f64_e32 v[48:49], 0x3ff921fb54442d18, v[46:47]
	v_add_f64_e32 v[46:47], v[56:57], v[48:49]
	s_delay_alu instid0(VALU_DEP_1) | instskip(NEXT) | instid1(VALU_DEP_1)
	v_add_f64_e64 v[54:55], v[46:47], -v[56:57]
	v_add_f64_e64 v[48:49], v[48:49], -v[54:55]
	s_and_not1_saveexec_b32 s4, s4
	s_cbranch_execnz .LBB0_49
.LBB0_46:
	s_or_b32 exec_lo, exec_lo, s4
	s_delay_alu instid0(SALU_CYCLE_1)
	s_and_b32 vcc_lo, exec_lo, s10
	s_cbranch_vccz .LBB0_50
.LBB0_47:
	v_cmp_le_f64_e64 vcc_lo, 0x7b000000, |s[6:7]|
	s_and_b32 s4, s7, 0x7fffffff
	s_mov_b64 s[14:15], 0x3ff921fb54442d18
	v_cndmask_b32_e32 v55, s4, v29, vcc_lo
	v_cndmask_b32_e32 v54, s6, v28, vcc_lo
	s_mov_b32 s4, 0
	s_delay_alu instid0(VALU_DEP_1) | instskip(SKIP_1) | instid1(VALU_DEP_2)
	v_mul_f64_e32 v[56:57], v[12:13], v[54:55]
	v_mul_f64_e32 v[58:59], v[10:11], v[54:55]
	v_fma_f64 v[60:61], v[12:13], v[54:55], -v[56:57]
	s_delay_alu instid0(VALU_DEP_1) | instskip(NEXT) | instid1(VALU_DEP_1)
	v_add_f64_e32 v[66:67], v[58:59], v[60:61]
	v_add_f64_e64 v[68:69], v[66:67], -v[58:59]
	v_add_f64_e32 v[74:75], v[56:57], v[66:67]
	v_fma_f64 v[88:89], v[10:11], v[54:55], -v[58:59]
	v_mul_f64_e32 v[76:77], v[8:9], v[54:55]
	s_delay_alu instid0(VALU_DEP_4) | instskip(SKIP_2) | instid1(VALU_DEP_4)
	v_add_f64_e64 v[72:73], v[66:67], -v[68:69]
	v_add_f64_e64 v[60:61], v[60:61], -v[68:69]
	v_ldexp_f64 v[68:69], v[74:75], -2
	v_fma_f64 v[54:55], v[8:9], v[54:55], -v[76:77]
	s_delay_alu instid0(VALU_DEP_4) | instskip(SKIP_1) | instid1(VALU_DEP_4)
	v_add_f64_e64 v[58:59], v[58:59], -v[72:73]
	v_add_f64_e32 v[72:73], v[76:77], v[88:89]
	v_cmp_neq_f64_e64 vcc_lo, 0x7ff00000, |v[68:69]|
	s_delay_alu instid0(VALU_DEP_3) | instskip(SKIP_1) | instid1(VALU_DEP_1)
	v_add_f64_e32 v[58:59], v[60:61], v[58:59]
	v_fract_f64_e32 v[60:61], v[68:69]
	v_ldexp_f64 v[60:61], v[60:61], 2
	s_delay_alu instid0(VALU_DEP_1) | instskip(SKIP_1) | instid1(VALU_DEP_3)
	v_cndmask_b32_e32 v61, 0, v61, vcc_lo
	v_add_f64_e64 v[56:57], v[74:75], -v[56:57]
	v_cndmask_b32_e32 v60, 0, v60, vcc_lo
	s_delay_alu instid0(VALU_DEP_2) | instskip(SKIP_1) | instid1(VALU_DEP_1)
	v_add_f64_e64 v[56:57], v[66:67], -v[56:57]
	v_add_f64_e32 v[66:67], v[72:73], v[58:59]
	v_add_f64_e32 v[68:69], v[56:57], v[66:67]
	v_add_f64_e64 v[90:91], v[66:67], -v[72:73]
	s_delay_alu instid0(VALU_DEP_2) | instskip(NEXT) | instid1(VALU_DEP_2)
	v_add_f64_e32 v[74:75], v[68:69], v[60:61]
	v_add_f64_e64 v[96:97], v[66:67], -v[90:91]
	v_add_f64_e64 v[58:59], v[58:59], -v[90:91]
	;; [unrolled: 1-line block ×3, first 2 shown]
	s_delay_alu instid0(VALU_DEP_4) | instskip(SKIP_1) | instid1(VALU_DEP_3)
	v_cmp_gt_f64_e32 vcc_lo, 0, v[74:75]
	v_add_f64_e64 v[74:75], v[72:73], -v[76:77]
	v_add_f64_e64 v[56:57], v[66:67], -v[56:57]
	s_and_b32 s5, vcc_lo, exec_lo
	s_cselect_b32 s5, 0x40100000, 0
	s_delay_alu instid0(VALU_DEP_2) | instskip(SKIP_3) | instid1(VALU_DEP_4)
	v_add_f64_e64 v[94:95], v[72:73], -v[74:75]
	v_add_f64_e32 v[60:61], s[4:5], v[60:61]
	v_add_f64_e64 v[74:75], v[88:89], -v[74:75]
	v_add_f64_e64 v[72:73], v[72:73], -v[96:97]
	v_add_f64_e64 v[88:89], v[76:77], -v[94:95]
	s_delay_alu instid0(VALU_DEP_4) | instskip(NEXT) | instid1(VALU_DEP_3)
	v_add_f64_e32 v[92:93], v[68:69], v[60:61]
	v_add_f64_e32 v[58:59], v[58:59], v[72:73]
	s_delay_alu instid0(VALU_DEP_3) | instskip(NEXT) | instid1(VALU_DEP_3)
	v_add_f64_e32 v[74:75], v[74:75], v[88:89]
	v_cvt_i32_f64_e32 v0, v[92:93]
	s_delay_alu instid0(VALU_DEP_2) | instskip(NEXT) | instid1(VALU_DEP_2)
	v_add_f64_e32 v[58:59], v[74:75], v[58:59]
	v_cvt_f64_i32_e32 v[90:91], v0
	s_delay_alu instid0(VALU_DEP_2) | instskip(NEXT) | instid1(VALU_DEP_2)
	v_add_f64_e32 v[54:55], v[54:55], v[58:59]
	v_add_f64_e64 v[60:61], v[60:61], -v[90:91]
	s_delay_alu instid0(VALU_DEP_2) | instskip(NEXT) | instid1(VALU_DEP_2)
	v_add_f64_e32 v[54:55], v[56:57], v[54:55]
	v_add_f64_e32 v[72:73], v[68:69], v[60:61]
	s_delay_alu instid0(VALU_DEP_1) | instskip(SKIP_1) | instid1(VALU_DEP_2)
	v_add_f64_e64 v[58:59], v[72:73], -v[60:61]
	v_cmp_le_f64_e32 vcc_lo, 0.5, v[72:73]
	v_add_f64_e64 v[56:57], v[68:69], -v[58:59]
	s_and_b32 s5, vcc_lo, exec_lo
	s_cselect_b32 s5, 0x3ff00000, 0
	v_add_co_ci_u32_e64 v89, null, 0, v0, vcc_lo
	s_delay_alu instid0(VALU_DEP_2) | instskip(SKIP_1) | instid1(VALU_DEP_1)
	v_add_f64_e32 v[54:55], v[54:55], v[56:57]
	v_add_f64_e64 v[56:57], v[72:73], -s[4:5]
	v_add_f64_e32 v[58:59], v[56:57], v[54:55]
	s_delay_alu instid0(VALU_DEP_1) | instskip(SKIP_1) | instid1(VALU_DEP_2)
	v_mul_f64_e32 v[60:61], 0x3ff921fb54442d18, v[58:59]
	v_add_f64_e64 v[56:57], v[58:59], -v[56:57]
	v_fma_f64 v[66:67], v[58:59], s[14:15], -v[60:61]
	s_delay_alu instid0(VALU_DEP_2) | instskip(NEXT) | instid1(VALU_DEP_2)
	v_add_f64_e64 v[54:55], v[54:55], -v[56:57]
	v_fmamk_f64 v[56:57], v[58:59], 0x3c91a62633145c07, v[66:67]
	s_delay_alu instid0(VALU_DEP_1) | instskip(NEXT) | instid1(VALU_DEP_1)
	v_fmac_f64_e32 v[56:57], 0x3ff921fb54442d18, v[54:55]
	v_add_f64_e32 v[66:67], v[60:61], v[56:57]
	s_delay_alu instid0(VALU_DEP_1) | instskip(NEXT) | instid1(VALU_DEP_1)
	v_add_f64_e64 v[54:55], v[66:67], -v[60:61]
	v_add_f64_e64 v[68:69], v[56:57], -v[54:55]
	s_cbranch_execz .LBB0_51
	s_branch .LBB0_52
.LBB0_48:
	s_and_not1_saveexec_b32 s4, s4
	s_cbranch_execz .LBB0_46
.LBB0_49:
	s_mov_b64 s[14:15], 0x3fe45f306dc9c883
	s_delay_alu instid0(SALU_CYCLE_1) | instskip(SKIP_1) | instid1(VALU_DEP_1)
	v_mul_f64_e64 v[46:47], |v[66:67]|, s[14:15]
	s_mov_b64 s[14:15], 0xbff921fb54442d18
	v_rndne_f64_e32 v[54:55], v[46:47]
	s_delay_alu instid0(VALU_DEP_1) | instskip(SKIP_2) | instid1(VALU_DEP_3)
	v_fma_f64 v[46:47], v[54:55], s[14:15], |v[66:67]|
	v_mul_f64_e32 v[48:49], 0xbc91a62633145c00, v[54:55]
	v_cvt_i32_f64_e32 v85, v[54:55]
	v_fmamk_f64 v[60:61], v[54:55], 0xbc91a62633145c00, v[46:47]
	s_delay_alu instid0(VALU_DEP_3) | instskip(NEXT) | instid1(VALU_DEP_1)
	v_add_f64_e32 v[56:57], v[46:47], v[48:49]
	v_add_f64_e64 v[58:59], v[46:47], -v[56:57]
	s_delay_alu instid0(VALU_DEP_3) | instskip(NEXT) | instid1(VALU_DEP_2)
	v_add_f64_e64 v[46:47], v[56:57], -v[60:61]
	v_add_f64_e32 v[56:57], v[58:59], v[48:49]
	v_fmamk_f64 v[48:49], v[54:55], 0x3c91a62633145c00, v[48:49]
	s_delay_alu instid0(VALU_DEP_2) | instskip(NEXT) | instid1(VALU_DEP_1)
	v_add_f64_e32 v[46:47], v[46:47], v[56:57]
	v_add_f64_e64 v[46:47], v[46:47], -v[48:49]
	s_delay_alu instid0(VALU_DEP_1) | instskip(NEXT) | instid1(VALU_DEP_1)
	v_fmamk_f64 v[48:49], v[54:55], 0xb97b839a252049c0, v[46:47]
	v_add_f64_e32 v[46:47], v[60:61], v[48:49]
	s_delay_alu instid0(VALU_DEP_1) | instskip(NEXT) | instid1(VALU_DEP_1)
	v_add_f64_e64 v[56:57], v[46:47], -v[60:61]
	v_add_f64_e64 v[48:49], v[48:49], -v[56:57]
	s_or_b32 exec_lo, exec_lo, s4
	s_delay_alu instid0(SALU_CYCLE_1)
	s_and_b32 vcc_lo, exec_lo, s10
	s_cbranch_vccnz .LBB0_47
.LBB0_50:
                                        ; implicit-def: $vgpr89
                                        ; implicit-def: $vgpr66_vgpr67
                                        ; implicit-def: $vgpr68_vgpr69
.LBB0_51:
	s_mov_b64 s[4:5], 0x3fe45f306dc9c883
	s_delay_alu instid0(SALU_CYCLE_1) | instskip(SKIP_1) | instid1(VALU_DEP_1)
	v_mul_f64_e64 v[54:55], |s[6:7]|, s[4:5]
	s_mov_b64 s[4:5], 0xbff921fb54442d18
	v_rndne_f64_e32 v[54:55], v[54:55]
	s_delay_alu instid0(VALU_DEP_1) | instskip(SKIP_2) | instid1(VALU_DEP_2)
	v_fma_f64 v[56:57], v[54:55], s[4:5], |s[6:7]|
	v_mul_f64_e32 v[58:59], 0xbc91a62633145c00, v[54:55]
	v_cvt_i32_f64_e32 v89, v[54:55]
	v_add_f64_e32 v[60:61], v[56:57], v[58:59]
	s_delay_alu instid0(VALU_DEP_1) | instskip(SKIP_1) | instid1(VALU_DEP_1)
	v_add_f64_e64 v[66:67], v[56:57], -v[60:61]
	v_fmamk_f64 v[56:57], v[54:55], 0xbc91a62633145c00, v[56:57]
	v_add_f64_e64 v[60:61], v[60:61], -v[56:57]
	s_delay_alu instid0(VALU_DEP_3) | instskip(SKIP_1) | instid1(VALU_DEP_2)
	v_add_f64_e32 v[66:67], v[66:67], v[58:59]
	v_fmamk_f64 v[58:59], v[54:55], 0x3c91a62633145c00, v[58:59]
	v_add_f64_e32 v[60:61], v[60:61], v[66:67]
	s_delay_alu instid0(VALU_DEP_1) | instskip(NEXT) | instid1(VALU_DEP_1)
	v_add_f64_e64 v[58:59], v[60:61], -v[58:59]
	v_fmamk_f64 v[58:59], v[54:55], 0xb97b839a252049c0, v[58:59]
	s_delay_alu instid0(VALU_DEP_1) | instskip(NEXT) | instid1(VALU_DEP_1)
	v_add_f64_e32 v[66:67], v[56:57], v[58:59]
	v_add_f64_e64 v[56:57], v[66:67], -v[56:57]
	s_delay_alu instid0(VALU_DEP_1)
	v_add_f64_e64 v[68:69], v[58:59], -v[56:57]
.LBB0_52:
                                        ; implicit-def: $vgpr0
                                        ; implicit-def: $vgpr58_vgpr59
                                        ; implicit-def: $vgpr60_vgpr61
	s_and_saveexec_b32 s4, s12
	s_delay_alu instid0(SALU_CYCLE_1)
	s_xor_b32 s4, exec_lo, s4
	s_cbranch_execz .LBB0_54
; %bb.53:
	v_mov_b64_e32 v[4:5], v[112:113]
	s_mov_b64 s[14:15], 0x3ff921fb54442d18
	v_mov_b32_e32 v96, 0
	s_delay_alu instid0(VALU_DEP_2) | instskip(SKIP_1) | instid1(VALU_DEP_1)
	v_cmp_le_f64_e64 vcc_lo, 0x7b000000, |v[4:5]|
	v_dual_cndmask_b32 v55, v1, v65 :: v_dual_cndmask_b32 v54, v4, v64
	v_mul_f64_e32 v[56:57], v[62:63], v[54:55]
	v_mul_f64_e32 v[58:59], v[32:33], v[54:55]
	v_mul_f64_e32 v[92:93], v[2:3], v[54:55]
	s_delay_alu instid0(VALU_DEP_3) | instskip(NEXT) | instid1(VALU_DEP_3)
	v_fma_f64 v[60:61], v[62:63], v[54:55], -v[56:57]
	v_fma_f64 v[94:95], v[32:33], v[54:55], -v[58:59]
	s_delay_alu instid0(VALU_DEP_3) | instskip(NEXT) | instid1(VALU_DEP_3)
	v_fma_f64 v[54:55], v[2:3], v[54:55], -v[92:93]
	v_add_f64_e32 v[72:73], v[58:59], v[60:61]
	s_delay_alu instid0(VALU_DEP_1) | instskip(SKIP_1) | instid1(VALU_DEP_2)
	v_add_f64_e64 v[74:75], v[72:73], -v[58:59]
	v_add_f64_e32 v[90:91], v[56:57], v[72:73]
	v_add_f64_e64 v[76:77], v[72:73], -v[74:75]
	v_add_f64_e64 v[60:61], v[60:61], -v[74:75]
	s_delay_alu instid0(VALU_DEP_3) | instskip(NEXT) | instid1(VALU_DEP_3)
	v_ldexp_f64 v[74:75], v[90:91], -2
	v_add_f64_e64 v[58:59], v[58:59], -v[76:77]
	v_add_f64_e32 v[76:77], v[92:93], v[94:95]
	s_delay_alu instid0(VALU_DEP_3) | instskip(NEXT) | instid1(VALU_DEP_3)
	v_cmp_neq_f64_e64 vcc_lo, 0x7ff00000, |v[74:75]|
	v_add_f64_e32 v[58:59], v[60:61], v[58:59]
	v_fract_f64_e32 v[60:61], v[74:75]
	s_delay_alu instid0(VALU_DEP_1) | instskip(NEXT) | instid1(VALU_DEP_1)
	v_ldexp_f64 v[60:61], v[60:61], 2
	v_cndmask_b32_e32 v61, 0, v61, vcc_lo
	v_add_f64_e64 v[56:57], v[90:91], -v[56:57]
	s_delay_alu instid0(VALU_DEP_3) | instskip(NEXT) | instid1(VALU_DEP_2)
	v_cndmask_b32_e32 v60, 0, v60, vcc_lo
	v_add_f64_e64 v[56:57], v[72:73], -v[56:57]
	v_add_f64_e32 v[72:73], v[76:77], v[58:59]
	s_delay_alu instid0(VALU_DEP_1) | instskip(SKIP_1) | instid1(VALU_DEP_2)
	v_add_f64_e32 v[74:75], v[56:57], v[72:73]
	v_add_f64_e64 v[98:99], v[72:73], -v[76:77]
	v_add_f64_e32 v[90:91], v[74:75], v[60:61]
	s_delay_alu instid0(VALU_DEP_2) | instskip(SKIP_2) | instid1(VALU_DEP_4)
	v_add_f64_e64 v[104:105], v[72:73], -v[98:99]
	v_add_f64_e64 v[58:59], v[58:59], -v[98:99]
	;; [unrolled: 1-line block ×3, first 2 shown]
	v_cmp_gt_f64_e32 vcc_lo, 0, v[90:91]
	v_add_f64_e64 v[90:91], v[76:77], -v[92:93]
	s_delay_alu instid0(VALU_DEP_3) | instskip(SKIP_1) | instid1(VALU_DEP_3)
	v_add_f64_e64 v[56:57], v[72:73], -v[56:57]
	v_cndmask_b32_e64 v97, 0, 0x40100000, vcc_lo
	v_add_f64_e64 v[102:103], v[76:77], -v[90:91]
	v_add_f64_e64 v[90:91], v[94:95], -v[90:91]
	v_add_f64_e64 v[76:77], v[76:77], -v[104:105]
	s_delay_alu instid0(VALU_DEP_4) | instskip(NEXT) | instid1(VALU_DEP_4)
	v_add_f64_e32 v[60:61], v[60:61], v[96:97]
	v_add_f64_e64 v[94:95], v[92:93], -v[102:103]
	s_delay_alu instid0(VALU_DEP_3) | instskip(NEXT) | instid1(VALU_DEP_3)
	v_add_f64_e32 v[58:59], v[58:59], v[76:77]
	v_add_f64_e32 v[100:101], v[74:75], v[60:61]
	s_delay_alu instid0(VALU_DEP_3) | instskip(NEXT) | instid1(VALU_DEP_2)
	v_add_f64_e32 v[90:91], v[90:91], v[94:95]
	v_cvt_i32_f64_e32 v0, v[100:101]
	s_delay_alu instid0(VALU_DEP_2) | instskip(NEXT) | instid1(VALU_DEP_2)
	v_add_f64_e32 v[58:59], v[90:91], v[58:59]
	v_cvt_f64_i32_e32 v[98:99], v0
	s_delay_alu instid0(VALU_DEP_2) | instskip(NEXT) | instid1(VALU_DEP_2)
	v_add_f64_e32 v[54:55], v[54:55], v[58:59]
	v_add_f64_e64 v[60:61], v[60:61], -v[98:99]
	s_delay_alu instid0(VALU_DEP_2) | instskip(NEXT) | instid1(VALU_DEP_2)
	v_add_f64_e32 v[54:55], v[56:57], v[54:55]
	v_add_f64_e32 v[76:77], v[74:75], v[60:61]
	s_delay_alu instid0(VALU_DEP_1) | instskip(SKIP_1) | instid1(VALU_DEP_2)
	v_add_f64_e64 v[58:59], v[76:77], -v[60:61]
	v_cmp_le_f64_e32 vcc_lo, 0.5, v[76:77]
	v_add_f64_e64 v[56:57], v[74:75], -v[58:59]
	v_cndmask_b32_e64 v97, 0, 0x3ff00000, vcc_lo
	v_add_co_ci_u32_e64 v0, null, 0, v0, vcc_lo
	s_delay_alu instid0(VALU_DEP_3) | instskip(NEXT) | instid1(VALU_DEP_3)
	v_add_f64_e32 v[54:55], v[54:55], v[56:57]
	v_add_f64_e64 v[56:57], v[76:77], -v[96:97]
	s_delay_alu instid0(VALU_DEP_1) | instskip(NEXT) | instid1(VALU_DEP_1)
	v_add_f64_e32 v[58:59], v[56:57], v[54:55]
	v_mul_f64_e32 v[60:61], 0x3ff921fb54442d18, v[58:59]
	v_add_f64_e64 v[56:57], v[58:59], -v[56:57]
	s_delay_alu instid0(VALU_DEP_2) | instskip(NEXT) | instid1(VALU_DEP_2)
	v_fma_f64 v[72:73], v[58:59], s[14:15], -v[60:61]
	v_add_f64_e64 v[54:55], v[54:55], -v[56:57]
	s_delay_alu instid0(VALU_DEP_2) | instskip(NEXT) | instid1(VALU_DEP_1)
	v_fmamk_f64 v[56:57], v[58:59], 0x3c91a62633145c07, v[72:73]
	v_fmac_f64_e32 v[56:57], 0x3ff921fb54442d18, v[54:55]
	s_delay_alu instid0(VALU_DEP_1) | instskip(NEXT) | instid1(VALU_DEP_1)
	v_add_f64_e32 v[58:59], v[60:61], v[56:57]
	v_add_f64_e64 v[54:55], v[58:59], -v[60:61]
	s_delay_alu instid0(VALU_DEP_1)
	v_add_f64_e64 v[60:61], v[56:57], -v[54:55]
	s_and_not1_saveexec_b32 s4, s4
	s_cbranch_execz .LBB0_56
	s_branch .LBB0_55
.LBB0_54:
	s_and_not1_saveexec_b32 s4, s4
	s_cbranch_execz .LBB0_56
.LBB0_55:
	v_mov_b64_e32 v[4:5], v[112:113]
	s_mov_b64 s[14:15], 0x3fe45f306dc9c883
	s_delay_alu instid0(VALU_DEP_1) | instid1(SALU_CYCLE_1)
	v_mul_f64_e64 v[54:55], |v[4:5]|, s[14:15]
	s_mov_b64 s[14:15], 0xbff921fb54442d18
	s_delay_alu instid0(VALU_DEP_1) | instskip(NEXT) | instid1(VALU_DEP_1)
	v_rndne_f64_e32 v[54:55], v[54:55]
	v_fma_f64 v[56:57], v[54:55], s[14:15], |v[4:5]|
	v_mul_f64_e32 v[58:59], 0xbc91a62633145c00, v[54:55]
	v_cvt_i32_f64_e32 v0, v[54:55]
	s_delay_alu instid0(VALU_DEP_2) | instskip(NEXT) | instid1(VALU_DEP_1)
	v_add_f64_e32 v[60:61], v[56:57], v[58:59]
	v_add_f64_e64 v[72:73], v[56:57], -v[60:61]
	v_fmamk_f64 v[56:57], v[54:55], 0xbc91a62633145c00, v[56:57]
	s_delay_alu instid0(VALU_DEP_1) | instskip(NEXT) | instid1(VALU_DEP_3)
	v_add_f64_e64 v[60:61], v[60:61], -v[56:57]
	v_add_f64_e32 v[72:73], v[72:73], v[58:59]
	v_fmamk_f64 v[58:59], v[54:55], 0x3c91a62633145c00, v[58:59]
	s_delay_alu instid0(VALU_DEP_2) | instskip(NEXT) | instid1(VALU_DEP_1)
	v_add_f64_e32 v[60:61], v[60:61], v[72:73]
	v_add_f64_e64 v[58:59], v[60:61], -v[58:59]
	s_delay_alu instid0(VALU_DEP_1) | instskip(NEXT) | instid1(VALU_DEP_1)
	v_fmamk_f64 v[60:61], v[54:55], 0xb97b839a252049c0, v[58:59]
	v_add_f64_e32 v[58:59], v[56:57], v[60:61]
	s_delay_alu instid0(VALU_DEP_1) | instskip(NEXT) | instid1(VALU_DEP_1)
	v_add_f64_e64 v[56:57], v[58:59], -v[56:57]
	v_add_f64_e64 v[60:61], v[60:61], -v[56:57]
.LBB0_56:
	s_or_b32 exec_lo, exec_lo, s4
                                        ; implicit-def: $vgpr88
                                        ; implicit-def: $vgpr54_vgpr55
                                        ; implicit-def: $vgpr56_vgpr57
	s_and_saveexec_b32 s4, s12
	s_delay_alu instid0(SALU_CYCLE_1)
	s_xor_b32 s4, exec_lo, s4
	s_cbranch_execz .LBB0_60
; %bb.57:
	v_mov_b64_e32 v[4:5], v[112:113]
	s_mov_b64 s[14:15], 0x3ff921fb54442d18
	v_mov_b32_e32 v100, 0
	s_delay_alu instid0(VALU_DEP_2) | instskip(SKIP_1) | instid1(VALU_DEP_1)
	v_cmp_le_f64_e64 vcc_lo, 0x7b000000, |v[4:5]|
	v_dual_cndmask_b32 v55, v1, v65 :: v_dual_cndmask_b32 v54, v4, v64
	v_mul_f64_e32 v[56:57], v[62:63], v[54:55]
	v_mul_f64_e32 v[72:73], v[32:33], v[54:55]
	;; [unrolled: 1-line block ×3, first 2 shown]
	s_delay_alu instid0(VALU_DEP_3) | instskip(NEXT) | instid1(VALU_DEP_3)
	v_fma_f64 v[74:75], v[62:63], v[54:55], -v[56:57]
	v_fma_f64 v[98:99], v[32:33], v[54:55], -v[72:73]
	s_delay_alu instid0(VALU_DEP_3) | instskip(NEXT) | instid1(VALU_DEP_3)
	v_fma_f64 v[54:55], v[2:3], v[54:55], -v[96:97]
	v_add_f64_e32 v[76:77], v[72:73], v[74:75]
	s_delay_alu instid0(VALU_DEP_1) | instskip(SKIP_1) | instid1(VALU_DEP_2)
	v_add_f64_e64 v[90:91], v[76:77], -v[72:73]
	v_add_f64_e32 v[94:95], v[56:57], v[76:77]
	v_add_f64_e64 v[92:93], v[76:77], -v[90:91]
	v_add_f64_e64 v[74:75], v[74:75], -v[90:91]
	s_delay_alu instid0(VALU_DEP_3) | instskip(NEXT) | instid1(VALU_DEP_3)
	v_ldexp_f64 v[90:91], v[94:95], -2
	v_add_f64_e64 v[72:73], v[72:73], -v[92:93]
	v_add_f64_e32 v[92:93], v[96:97], v[98:99]
	s_delay_alu instid0(VALU_DEP_3) | instskip(NEXT) | instid1(VALU_DEP_3)
	v_cmp_neq_f64_e64 vcc_lo, 0x7ff00000, |v[90:91]|
	v_add_f64_e32 v[72:73], v[74:75], v[72:73]
	v_fract_f64_e32 v[74:75], v[90:91]
	s_delay_alu instid0(VALU_DEP_1) | instskip(NEXT) | instid1(VALU_DEP_1)
	v_ldexp_f64 v[74:75], v[74:75], 2
	v_dual_add_f64 v[56:57], v[94:95], -v[56:57] :: v_dual_cndmask_b32 v74, 0, v74, vcc_lo
	s_delay_alu instid0(VALU_DEP_1) | instskip(SKIP_1) | instid1(VALU_DEP_1)
	v_dual_add_f64 v[56:57], v[76:77], -v[56:57] :: v_dual_cndmask_b32 v75, 0, v75, vcc_lo
	v_add_f64_e32 v[76:77], v[92:93], v[72:73]
	v_add_f64_e32 v[90:91], v[56:57], v[76:77]
	v_add_f64_e64 v[102:103], v[76:77], -v[92:93]
	s_delay_alu instid0(VALU_DEP_2) | instskip(NEXT) | instid1(VALU_DEP_2)
	v_add_f64_e32 v[94:95], v[90:91], v[74:75]
	v_add_f64_e64 v[108:109], v[76:77], -v[102:103]
	v_add_f64_e64 v[72:73], v[72:73], -v[102:103]
	;; [unrolled: 1-line block ×3, first 2 shown]
	s_delay_alu instid0(VALU_DEP_4) | instskip(SKIP_1) | instid1(VALU_DEP_3)
	v_cmp_gt_f64_e32 vcc_lo, 0, v[94:95]
	v_add_f64_e64 v[94:95], v[92:93], -v[96:97]
	v_add_f64_e64 v[56:57], v[76:77], -v[56:57]
	v_cndmask_b32_e64 v101, 0, 0x40100000, vcc_lo
	s_delay_alu instid0(VALU_DEP_3) | instskip(SKIP_2) | instid1(VALU_DEP_4)
	v_add_f64_e64 v[106:107], v[92:93], -v[94:95]
	v_add_f64_e64 v[94:95], v[98:99], -v[94:95]
	v_add_f64_e64 v[92:93], v[92:93], -v[108:109]
	v_add_f64_e32 v[74:75], v[74:75], v[100:101]
	s_delay_alu instid0(VALU_DEP_4) | instskip(NEXT) | instid1(VALU_DEP_3)
	v_add_f64_e64 v[98:99], v[96:97], -v[106:107]
	v_add_f64_e32 v[72:73], v[72:73], v[92:93]
	s_delay_alu instid0(VALU_DEP_3) | instskip(NEXT) | instid1(VALU_DEP_3)
	v_add_f64_e32 v[104:105], v[90:91], v[74:75]
	v_add_f64_e32 v[94:95], v[94:95], v[98:99]
	s_delay_alu instid0(VALU_DEP_2) | instskip(NEXT) | instid1(VALU_DEP_2)
	v_cvt_i32_f64_e32 v4, v[104:105]
	v_add_f64_e32 v[72:73], v[94:95], v[72:73]
	s_delay_alu instid0(VALU_DEP_2) | instskip(NEXT) | instid1(VALU_DEP_2)
	v_cvt_f64_i32_e32 v[102:103], v4
	v_add_f64_e32 v[54:55], v[54:55], v[72:73]
	s_delay_alu instid0(VALU_DEP_2) | instskip(NEXT) | instid1(VALU_DEP_2)
	v_add_f64_e64 v[74:75], v[74:75], -v[102:103]
	v_add_f64_e32 v[54:55], v[56:57], v[54:55]
	s_delay_alu instid0(VALU_DEP_2) | instskip(NEXT) | instid1(VALU_DEP_1)
	v_add_f64_e32 v[92:93], v[90:91], v[74:75]
	v_add_f64_e64 v[72:73], v[92:93], -v[74:75]
	v_cmp_le_f64_e32 vcc_lo, 0.5, v[92:93]
	s_delay_alu instid0(VALU_DEP_2) | instskip(SKIP_2) | instid1(VALU_DEP_3)
	v_add_f64_e64 v[56:57], v[90:91], -v[72:73]
	v_cndmask_b32_e64 v101, 0, 0x3ff00000, vcc_lo
	v_add_co_ci_u32_e64 v88, null, 0, v4, vcc_lo
	v_add_f64_e32 v[54:55], v[54:55], v[56:57]
	s_delay_alu instid0(VALU_DEP_3) | instskip(NEXT) | instid1(VALU_DEP_1)
	v_add_f64_e64 v[56:57], v[92:93], -v[100:101]
	v_add_f64_e32 v[72:73], v[56:57], v[54:55]
	s_delay_alu instid0(VALU_DEP_1) | instskip(SKIP_1) | instid1(VALU_DEP_2)
	v_mul_f64_e32 v[74:75], 0x3ff921fb54442d18, v[72:73]
	v_add_f64_e64 v[56:57], v[72:73], -v[56:57]
	v_fma_f64 v[76:77], v[72:73], s[14:15], -v[74:75]
	s_delay_alu instid0(VALU_DEP_2) | instskip(NEXT) | instid1(VALU_DEP_2)
	v_add_f64_e64 v[54:55], v[54:55], -v[56:57]
	v_fmamk_f64 v[56:57], v[72:73], 0x3c91a62633145c07, v[76:77]
	s_delay_alu instid0(VALU_DEP_1) | instskip(NEXT) | instid1(VALU_DEP_1)
	v_fmac_f64_e32 v[56:57], 0x3ff921fb54442d18, v[54:55]
	v_add_f64_e32 v[54:55], v[74:75], v[56:57]
	s_delay_alu instid0(VALU_DEP_1) | instskip(NEXT) | instid1(VALU_DEP_1)
	v_add_f64_e64 v[72:73], v[54:55], -v[74:75]
	v_add_f64_e64 v[56:57], v[56:57], -v[72:73]
	s_and_not1_saveexec_b32 s4, s4
	s_cbranch_execnz .LBB0_61
.LBB0_58:
	s_or_b32 exec_lo, exec_lo, s4
	s_delay_alu instid0(SALU_CYCLE_1)
	s_and_b32 vcc_lo, exec_lo, s10
	s_cbranch_vccz .LBB0_62
.LBB0_59:
	v_cmp_le_f64_e64 vcc_lo, 0x7b000000, |s[6:7]|
	s_and_b32 s4, s7, 0x7fffffff
	s_mov_b64 s[10:11], 0x3ff921fb54442d18
	v_cndmask_b32_e32 v29, s4, v29, vcc_lo
	v_cndmask_b32_e32 v28, s6, v28, vcc_lo
	s_mov_b32 s4, 0
	s_delay_alu instid0(VALU_DEP_1) | instskip(SKIP_1) | instid1(VALU_DEP_2)
	v_mul_f64_e32 v[72:73], v[12:13], v[28:29]
	v_mul_f64_e32 v[74:75], v[10:11], v[28:29]
	v_fma_f64 v[12:13], v[12:13], v[28:29], -v[72:73]
	s_delay_alu instid0(VALU_DEP_1) | instskip(NEXT) | instid1(VALU_DEP_1)
	v_add_f64_e32 v[76:77], v[74:75], v[12:13]
	v_add_f64_e64 v[90:91], v[76:77], -v[74:75]
	v_add_f64_e32 v[94:95], v[72:73], v[76:77]
	s_delay_alu instid0(VALU_DEP_2) | instskip(SKIP_2) | instid1(VALU_DEP_4)
	v_add_f64_e64 v[92:93], v[76:77], -v[90:91]
	v_fma_f64 v[10:11], v[10:11], v[28:29], -v[74:75]
	v_add_f64_e64 v[12:13], v[12:13], -v[90:91]
	v_ldexp_f64 v[90:91], v[94:95], -2
	v_mul_f64_e32 v[96:97], v[8:9], v[28:29]
	v_add_f64_e64 v[74:75], v[74:75], -v[92:93]
	s_delay_alu instid0(VALU_DEP_3) | instskip(NEXT) | instid1(VALU_DEP_3)
	v_cmp_neq_f64_e64 vcc_lo, 0x7ff00000, |v[90:91]|
	v_add_f64_e32 v[92:93], v[96:97], v[10:11]
	v_fma_f64 v[8:9], v[8:9], v[28:29], -v[96:97]
	s_delay_alu instid0(VALU_DEP_4) | instskip(SKIP_1) | instid1(VALU_DEP_1)
	v_add_f64_e32 v[12:13], v[12:13], v[74:75]
	v_fract_f64_e32 v[74:75], v[90:91]
	v_ldexp_f64 v[74:75], v[74:75], 2
	s_delay_alu instid0(VALU_DEP_1) | instskip(NEXT) | instid1(VALU_DEP_1)
	v_dual_add_f64 v[72:73], v[94:95], -v[72:73] :: v_dual_cndmask_b32 v75, 0, v75, vcc_lo
	v_dual_add_f64 v[72:73], v[76:77], -v[72:73] :: v_dual_cndmask_b32 v74, 0, v74, vcc_lo
	v_add_f64_e32 v[76:77], v[92:93], v[12:13]
	s_delay_alu instid0(VALU_DEP_1) | instskip(SKIP_1) | instid1(VALU_DEP_2)
	v_add_f64_e32 v[90:91], v[72:73], v[76:77]
	v_add_f64_e64 v[98:99], v[76:77], -v[92:93]
	v_add_f64_e32 v[94:95], v[90:91], v[74:75]
	s_delay_alu instid0(VALU_DEP_2) | instskip(SKIP_2) | instid1(VALU_DEP_4)
	v_add_f64_e64 v[104:105], v[76:77], -v[98:99]
	v_add_f64_e64 v[12:13], v[12:13], -v[98:99]
	;; [unrolled: 1-line block ×3, first 2 shown]
	v_cmp_gt_f64_e32 vcc_lo, 0, v[94:95]
	v_add_f64_e64 v[94:95], v[92:93], -v[96:97]
	s_delay_alu instid0(VALU_DEP_3) | instskip(SKIP_2) | instid1(VALU_DEP_2)
	v_add_f64_e64 v[28:29], v[76:77], -v[28:29]
	s_and_b32 s5, vcc_lo, exec_lo
	s_cselect_b32 s5, 0x40100000, 0
	v_add_f64_e64 v[102:103], v[92:93], -v[94:95]
	v_add_f64_e32 v[74:75], s[4:5], v[74:75]
	v_add_f64_e64 v[10:11], v[10:11], -v[94:95]
	v_add_f64_e64 v[92:93], v[92:93], -v[104:105]
	s_delay_alu instid0(VALU_DEP_4) | instskip(NEXT) | instid1(VALU_DEP_4)
	v_add_f64_e64 v[94:95], v[96:97], -v[102:103]
	v_add_f64_e32 v[100:101], v[90:91], v[74:75]
	s_delay_alu instid0(VALU_DEP_3) | instskip(NEXT) | instid1(VALU_DEP_3)
	v_add_f64_e32 v[12:13], v[12:13], v[92:93]
	v_add_f64_e32 v[10:11], v[10:11], v[94:95]
	s_delay_alu instid0(VALU_DEP_3) | instskip(NEXT) | instid1(VALU_DEP_2)
	v_cvt_i32_f64_e32 v4, v[100:101]
	v_add_f64_e32 v[10:11], v[10:11], v[12:13]
	s_delay_alu instid0(VALU_DEP_2) | instskip(NEXT) | instid1(VALU_DEP_2)
	v_cvt_f64_i32_e32 v[98:99], v4
	v_add_f64_e32 v[8:9], v[8:9], v[10:11]
	s_delay_alu instid0(VALU_DEP_2) | instskip(NEXT) | instid1(VALU_DEP_2)
	v_add_f64_e64 v[74:75], v[74:75], -v[98:99]
	v_add_f64_e32 v[8:9], v[28:29], v[8:9]
	s_delay_alu instid0(VALU_DEP_2) | instskip(NEXT) | instid1(VALU_DEP_1)
	v_add_f64_e32 v[12:13], v[90:91], v[74:75]
	v_add_f64_e64 v[10:11], v[12:13], -v[74:75]
	v_cmp_le_f64_e32 vcc_lo, 0.5, v[12:13]
	s_delay_alu instid0(VALU_DEP_2) | instskip(SKIP_3) | instid1(VALU_DEP_2)
	v_add_f64_e64 v[10:11], v[90:91], -v[10:11]
	s_and_b32 s5, vcc_lo, exec_lo
	s_cselect_b32 s5, 0x3ff00000, 0
	v_add_co_ci_u32_e64 v92, null, 0, v4, vcc_lo
	v_add_f64_e32 v[8:9], v[8:9], v[10:11]
	v_add_f64_e64 v[10:11], v[12:13], -s[4:5]
	s_delay_alu instid0(VALU_DEP_1) | instskip(NEXT) | instid1(VALU_DEP_1)
	v_add_f64_e32 v[12:13], v[10:11], v[8:9]
	v_mul_f64_e32 v[28:29], 0x3ff921fb54442d18, v[12:13]
	v_add_f64_e64 v[10:11], v[12:13], -v[10:11]
	s_delay_alu instid0(VALU_DEP_2) | instskip(NEXT) | instid1(VALU_DEP_2)
	v_fma_f64 v[72:73], v[12:13], s[10:11], -v[28:29]
	v_add_f64_e64 v[8:9], v[8:9], -v[10:11]
	s_delay_alu instid0(VALU_DEP_2) | instskip(NEXT) | instid1(VALU_DEP_1)
	v_fmamk_f64 v[10:11], v[12:13], 0x3c91a62633145c07, v[72:73]
	v_fmac_f64_e32 v[10:11], 0x3ff921fb54442d18, v[8:9]
	s_delay_alu instid0(VALU_DEP_1) | instskip(NEXT) | instid1(VALU_DEP_1)
	v_add_f64_e32 v[74:75], v[28:29], v[10:11]
	v_add_f64_e64 v[8:9], v[74:75], -v[28:29]
	s_delay_alu instid0(VALU_DEP_1)
	v_add_f64_e64 v[76:77], v[10:11], -v[8:9]
	s_cbranch_execz .LBB0_63
	s_branch .LBB0_64
.LBB0_60:
	s_and_not1_saveexec_b32 s4, s4
	s_cbranch_execz .LBB0_58
.LBB0_61:
	v_mov_b64_e32 v[4:5], v[112:113]
	s_mov_b64 s[14:15], 0x3fe45f306dc9c883
	s_delay_alu instid0(VALU_DEP_1) | instid1(SALU_CYCLE_1)
	v_mul_f64_e64 v[54:55], |v[4:5]|, s[14:15]
	s_mov_b64 s[14:15], 0xbff921fb54442d18
	s_delay_alu instid0(VALU_DEP_1) | instskip(NEXT) | instid1(VALU_DEP_1)
	v_rndne_f64_e32 v[72:73], v[54:55]
	v_fma_f64 v[54:55], v[72:73], s[14:15], |v[4:5]|
	v_mul_f64_e32 v[56:57], 0xbc91a62633145c00, v[72:73]
	v_cvt_i32_f64_e32 v88, v[72:73]
	s_delay_alu instid0(VALU_DEP_3) | instskip(NEXT) | instid1(VALU_DEP_3)
	v_fmamk_f64 v[90:91], v[72:73], 0xbc91a62633145c00, v[54:55]
	v_add_f64_e32 v[74:75], v[54:55], v[56:57]
	s_delay_alu instid0(VALU_DEP_1) | instskip(NEXT) | instid1(VALU_DEP_3)
	v_add_f64_e64 v[76:77], v[54:55], -v[74:75]
	v_add_f64_e64 v[54:55], v[74:75], -v[90:91]
	s_delay_alu instid0(VALU_DEP_2) | instskip(SKIP_1) | instid1(VALU_DEP_2)
	v_add_f64_e32 v[74:75], v[76:77], v[56:57]
	v_fmamk_f64 v[56:57], v[72:73], 0x3c91a62633145c00, v[56:57]
	v_add_f64_e32 v[54:55], v[54:55], v[74:75]
	s_delay_alu instid0(VALU_DEP_1) | instskip(NEXT) | instid1(VALU_DEP_1)
	v_add_f64_e64 v[54:55], v[54:55], -v[56:57]
	v_fmamk_f64 v[56:57], v[72:73], 0xb97b839a252049c0, v[54:55]
	s_delay_alu instid0(VALU_DEP_1) | instskip(NEXT) | instid1(VALU_DEP_1)
	v_add_f64_e32 v[54:55], v[90:91], v[56:57]
	v_add_f64_e64 v[74:75], v[54:55], -v[90:91]
	s_delay_alu instid0(VALU_DEP_1) | instskip(SKIP_1) | instid1(SALU_CYCLE_1)
	v_add_f64_e64 v[56:57], v[56:57], -v[74:75]
	s_or_b32 exec_lo, exec_lo, s4
	s_and_b32 vcc_lo, exec_lo, s10
	s_cbranch_vccnz .LBB0_59
.LBB0_62:
                                        ; implicit-def: $vgpr92
                                        ; implicit-def: $vgpr74_vgpr75
                                        ; implicit-def: $vgpr76_vgpr77
.LBB0_63:
	s_mov_b64 s[4:5], 0x3fe45f306dc9c883
	s_delay_alu instid0(SALU_CYCLE_1) | instskip(SKIP_1) | instid1(VALU_DEP_1)
	v_mul_f64_e64 v[8:9], |s[6:7]|, s[4:5]
	s_mov_b64 s[4:5], 0xbff921fb54442d18
	v_rndne_f64_e32 v[8:9], v[8:9]
	s_delay_alu instid0(VALU_DEP_1) | instskip(SKIP_2) | instid1(VALU_DEP_2)
	v_fma_f64 v[10:11], v[8:9], s[4:5], |s[6:7]|
	v_mul_f64_e32 v[12:13], 0xbc91a62633145c00, v[8:9]
	v_cvt_i32_f64_e32 v92, v[8:9]
	v_add_f64_e32 v[28:29], v[10:11], v[12:13]
	s_delay_alu instid0(VALU_DEP_1) | instskip(SKIP_1) | instid1(VALU_DEP_1)
	v_add_f64_e64 v[72:73], v[10:11], -v[28:29]
	v_fmamk_f64 v[10:11], v[8:9], 0xbc91a62633145c00, v[10:11]
	v_add_f64_e64 v[28:29], v[28:29], -v[10:11]
	s_delay_alu instid0(VALU_DEP_3) | instskip(SKIP_1) | instid1(VALU_DEP_2)
	v_add_f64_e32 v[72:73], v[72:73], v[12:13]
	v_fmamk_f64 v[12:13], v[8:9], 0x3c91a62633145c00, v[12:13]
	v_add_f64_e32 v[28:29], v[28:29], v[72:73]
	s_delay_alu instid0(VALU_DEP_1) | instskip(NEXT) | instid1(VALU_DEP_1)
	v_add_f64_e64 v[12:13], v[28:29], -v[12:13]
	v_fmamk_f64 v[12:13], v[8:9], 0xb97b839a252049c0, v[12:13]
	s_delay_alu instid0(VALU_DEP_1) | instskip(NEXT) | instid1(VALU_DEP_1)
	v_add_f64_e32 v[74:75], v[10:11], v[12:13]
	v_add_f64_e64 v[10:11], v[74:75], -v[10:11]
	s_delay_alu instid0(VALU_DEP_1)
	v_add_f64_e64 v[76:77], v[12:13], -v[10:11]
.LBB0_64:
                                        ; implicit-def: $vgpr91
                                        ; implicit-def: $vgpr28_vgpr29
                                        ; implicit-def: $vgpr72_vgpr73
	s_and_saveexec_b32 s4, s3
	s_delay_alu instid0(SALU_CYCLE_1)
	s_xor_b32 s3, exec_lo, s4
	s_cbranch_execz .LBB0_66
; %bb.65:
	v_mov_b64_e32 v[4:5], v[114:115]
	s_mov_b64 s[4:5], 0x3ff921fb54442d18
	v_mov_b32_e32 v96, 0
	s_delay_alu instid0(VALU_DEP_2) | instskip(SKIP_2) | instid1(VALU_DEP_1)
	v_cmp_le_f64_e64 vcc_lo, 0x7b000000, |v[4:5]|
	v_cndmask_b32_e32 v9, v80, v71, vcc_lo
	v_cndmask_b32_e32 v8, v4, v70, vcc_lo
	v_mul_f64_e32 v[10:11], v[34:35], v[8:9]
	v_mul_f64_e32 v[12:13], v[30:31], v[8:9]
	s_delay_alu instid0(VALU_DEP_2) | instskip(NEXT) | instid1(VALU_DEP_1)
	v_fma_f64 v[28:29], v[34:35], v[8:9], -v[10:11]
	v_add_f64_e32 v[34:35], v[12:13], v[28:29]
	s_delay_alu instid0(VALU_DEP_1) | instskip(SKIP_2) | instid1(VALU_DEP_3)
	v_add_f64_e64 v[70:71], v[34:35], -v[12:13]
	v_add_f64_e32 v[90:91], v[10:11], v[34:35]
	v_fma_f64 v[30:31], v[30:31], v[8:9], -v[12:13]
	v_add_f64_e64 v[72:73], v[34:35], -v[70:71]
	v_add_f64_e64 v[28:29], v[28:29], -v[70:71]
	s_delay_alu instid0(VALU_DEP_4) | instskip(SKIP_1) | instid1(VALU_DEP_4)
	v_ldexp_f64 v[70:71], v[90:91], -2
	v_add_f64_e64 v[10:11], v[90:91], -v[10:11]
	v_add_f64_e64 v[12:13], v[12:13], -v[72:73]
	s_delay_alu instid0(VALU_DEP_3) | instskip(NEXT) | instid1(VALU_DEP_3)
	v_cmp_neq_f64_e64 vcc_lo, 0x7ff00000, |v[70:71]|
	v_add_f64_e64 v[10:11], v[34:35], -v[10:11]
	s_delay_alu instid0(VALU_DEP_3) | instskip(SKIP_1) | instid1(VALU_DEP_1)
	v_add_f64_e32 v[12:13], v[28:29], v[12:13]
	v_fract_f64_e32 v[28:29], v[70:71]
	v_ldexp_f64 v[28:29], v[28:29], 2
	s_delay_alu instid0(VALU_DEP_1) | instskip(SKIP_1) | instid1(VALU_DEP_1)
	v_cndmask_b32_e32 v29, 0, v29, vcc_lo
	v_mul_f64_e32 v[94:95], v[6:7], v[8:9]
	v_dual_add_f64 v[72:73], v[94:95], v[30:31] :: v_dual_cndmask_b32 v28, 0, v28, vcc_lo
	v_fma_f64 v[6:7], v[6:7], v[8:9], -v[94:95]
	s_delay_alu instid0(VALU_DEP_2) | instskip(NEXT) | instid1(VALU_DEP_1)
	v_add_f64_e32 v[34:35], v[72:73], v[12:13]
	v_add_f64_e32 v[70:71], v[10:11], v[34:35]
	v_add_f64_e64 v[98:99], v[34:35], -v[72:73]
	s_delay_alu instid0(VALU_DEP_2) | instskip(NEXT) | instid1(VALU_DEP_2)
	v_add_f64_e32 v[90:91], v[70:71], v[28:29]
	v_add_f64_e64 v[104:105], v[34:35], -v[98:99]
	v_add_f64_e64 v[12:13], v[12:13], -v[98:99]
	;; [unrolled: 1-line block ×3, first 2 shown]
	s_delay_alu instid0(VALU_DEP_4) | instskip(SKIP_1) | instid1(VALU_DEP_3)
	v_cmp_gt_f64_e32 vcc_lo, 0, v[90:91]
	v_add_f64_e64 v[90:91], v[72:73], -v[94:95]
	v_add_f64_e64 v[8:9], v[34:35], -v[8:9]
	v_cndmask_b32_e64 v97, 0, 0x40100000, vcc_lo
	s_delay_alu instid0(VALU_DEP_3) | instskip(SKIP_2) | instid1(VALU_DEP_4)
	v_add_f64_e64 v[102:103], v[72:73], -v[90:91]
	v_add_f64_e64 v[30:31], v[30:31], -v[90:91]
	;; [unrolled: 1-line block ×3, first 2 shown]
	v_add_f64_e32 v[28:29], v[28:29], v[96:97]
	s_delay_alu instid0(VALU_DEP_4) | instskip(NEXT) | instid1(VALU_DEP_3)
	v_add_f64_e64 v[90:91], v[94:95], -v[102:103]
	v_add_f64_e32 v[12:13], v[12:13], v[72:73]
	s_delay_alu instid0(VALU_DEP_3) | instskip(NEXT) | instid1(VALU_DEP_3)
	v_add_f64_e32 v[100:101], v[70:71], v[28:29]
	v_add_f64_e32 v[30:31], v[30:31], v[90:91]
	s_delay_alu instid0(VALU_DEP_2) | instskip(NEXT) | instid1(VALU_DEP_2)
	v_cvt_i32_f64_e32 v4, v[100:101]
	v_add_f64_e32 v[10:11], v[30:31], v[12:13]
	s_delay_alu instid0(VALU_DEP_2) | instskip(NEXT) | instid1(VALU_DEP_2)
	v_cvt_f64_i32_e32 v[98:99], v4
	v_add_f64_e32 v[6:7], v[6:7], v[10:11]
	s_delay_alu instid0(VALU_DEP_2) | instskip(NEXT) | instid1(VALU_DEP_2)
	v_add_f64_e64 v[28:29], v[28:29], -v[98:99]
	v_add_f64_e32 v[6:7], v[8:9], v[6:7]
	s_delay_alu instid0(VALU_DEP_2) | instskip(NEXT) | instid1(VALU_DEP_1)
	v_add_f64_e32 v[12:13], v[70:71], v[28:29]
	v_add_f64_e64 v[10:11], v[12:13], -v[28:29]
	v_cmp_le_f64_e32 vcc_lo, 0.5, v[12:13]
	s_delay_alu instid0(VALU_DEP_2) | instskip(SKIP_2) | instid1(VALU_DEP_3)
	v_add_f64_e64 v[8:9], v[70:71], -v[10:11]
	v_cndmask_b32_e64 v97, 0, 0x3ff00000, vcc_lo
	v_add_co_ci_u32_e64 v91, null, 0, v4, vcc_lo
	v_add_f64_e32 v[6:7], v[6:7], v[8:9]
	s_delay_alu instid0(VALU_DEP_3) | instskip(NEXT) | instid1(VALU_DEP_1)
	v_add_f64_e64 v[8:9], v[12:13], -v[96:97]
	v_add_f64_e32 v[10:11], v[8:9], v[6:7]
	s_delay_alu instid0(VALU_DEP_1) | instskip(SKIP_1) | instid1(VALU_DEP_2)
	v_mul_f64_e32 v[12:13], 0x3ff921fb54442d18, v[10:11]
	v_add_f64_e64 v[8:9], v[10:11], -v[8:9]
	v_fma_f64 v[28:29], v[10:11], s[4:5], -v[12:13]
	s_delay_alu instid0(VALU_DEP_2) | instskip(NEXT) | instid1(VALU_DEP_2)
	v_add_f64_e64 v[6:7], v[6:7], -v[8:9]
	v_fmamk_f64 v[8:9], v[10:11], 0x3c91a62633145c07, v[28:29]
	s_delay_alu instid0(VALU_DEP_1) | instskip(NEXT) | instid1(VALU_DEP_1)
	v_fmac_f64_e32 v[8:9], 0x3ff921fb54442d18, v[6:7]
	v_add_f64_e32 v[28:29], v[12:13], v[8:9]
	s_delay_alu instid0(VALU_DEP_1) | instskip(NEXT) | instid1(VALU_DEP_1)
	v_add_f64_e64 v[6:7], v[28:29], -v[12:13]
	v_add_f64_e64 v[72:73], v[8:9], -v[6:7]
	s_and_not1_saveexec_b32 s3, s3
	s_cbranch_execz .LBB0_68
	s_branch .LBB0_67
.LBB0_66:
	s_and_not1_saveexec_b32 s3, s3
	s_cbranch_execz .LBB0_68
.LBB0_67:
	v_mov_b64_e32 v[4:5], v[114:115]
	s_mov_b64 s[4:5], 0x3fe45f306dc9c883
	s_delay_alu instid0(VALU_DEP_1) | instid1(SALU_CYCLE_1)
	v_mul_f64_e64 v[6:7], |v[4:5]|, s[4:5]
	s_mov_b64 s[4:5], 0xbff921fb54442d18
	s_delay_alu instid0(VALU_DEP_1) | instskip(NEXT) | instid1(VALU_DEP_1)
	v_rndne_f64_e32 v[6:7], v[6:7]
	v_fma_f64 v[8:9], v[6:7], s[4:5], |v[4:5]|
	v_mul_f64_e32 v[10:11], 0xbc91a62633145c00, v[6:7]
	v_cvt_i32_f64_e32 v91, v[6:7]
	s_delay_alu instid0(VALU_DEP_2) | instskip(NEXT) | instid1(VALU_DEP_1)
	v_add_f64_e32 v[12:13], v[8:9], v[10:11]
	v_add_f64_e64 v[28:29], v[8:9], -v[12:13]
	v_fmamk_f64 v[8:9], v[6:7], 0xbc91a62633145c00, v[8:9]
	s_delay_alu instid0(VALU_DEP_1) | instskip(NEXT) | instid1(VALU_DEP_3)
	v_add_f64_e64 v[12:13], v[12:13], -v[8:9]
	v_add_f64_e32 v[28:29], v[28:29], v[10:11]
	v_fmamk_f64 v[10:11], v[6:7], 0x3c91a62633145c00, v[10:11]
	s_delay_alu instid0(VALU_DEP_2) | instskip(NEXT) | instid1(VALU_DEP_1)
	v_add_f64_e32 v[12:13], v[12:13], v[28:29]
	v_add_f64_e64 v[10:11], v[12:13], -v[10:11]
	s_delay_alu instid0(VALU_DEP_1) | instskip(NEXT) | instid1(VALU_DEP_1)
	v_fmamk_f64 v[10:11], v[6:7], 0xb97b839a252049c0, v[10:11]
	v_add_f64_e32 v[28:29], v[8:9], v[10:11]
	s_delay_alu instid0(VALU_DEP_1) | instskip(NEXT) | instid1(VALU_DEP_1)
	v_add_f64_e64 v[8:9], v[28:29], -v[8:9]
	v_add_f64_e64 v[72:73], v[10:11], -v[8:9]
.LBB0_68:
	s_or_b32 exec_lo, exec_lo, s3
                                        ; implicit-def: $vgpr90
                                        ; implicit-def: $vgpr6_vgpr7
                                        ; implicit-def: $vgpr70_vgpr71
	s_and_saveexec_b32 s3, s12
	s_delay_alu instid0(SALU_CYCLE_1)
	s_xor_b32 s3, exec_lo, s3
	s_cbranch_execz .LBB0_70
; %bb.69:
	v_mov_b64_e32 v[4:5], v[112:113]
	s_mov_b64 s[4:5], 0x3ff921fb54442d18
	v_mov_b32_e32 v100, 0
	s_delay_alu instid0(VALU_DEP_2) | instskip(SKIP_1) | instid1(VALU_DEP_1)
	v_cmp_le_f64_e64 vcc_lo, 0x7b000000, |v[4:5]|
	v_dual_cndmask_b32 v7, v1, v65 :: v_dual_cndmask_b32 v6, v4, v64
	v_mul_f64_e32 v[8:9], v[62:63], v[6:7]
	v_mul_f64_e32 v[10:11], v[32:33], v[6:7]
	;; [unrolled: 1-line block ×3, first 2 shown]
	s_delay_alu instid0(VALU_DEP_3) | instskip(NEXT) | instid1(VALU_DEP_3)
	v_fma_f64 v[12:13], v[62:63], v[6:7], -v[8:9]
	v_fma_f64 v[98:99], v[32:33], v[6:7], -v[10:11]
	s_delay_alu instid0(VALU_DEP_3) | instskip(NEXT) | instid1(VALU_DEP_3)
	v_fma_f64 v[6:7], v[2:3], v[6:7], -v[96:97]
	v_add_f64_e32 v[30:31], v[10:11], v[12:13]
	s_delay_alu instid0(VALU_DEP_1) | instskip(SKIP_1) | instid1(VALU_DEP_2)
	v_add_f64_e64 v[34:35], v[30:31], -v[10:11]
	v_add_f64_e32 v[94:95], v[8:9], v[30:31]
	v_add_f64_e64 v[70:71], v[30:31], -v[34:35]
	v_add_f64_e64 v[12:13], v[12:13], -v[34:35]
	s_delay_alu instid0(VALU_DEP_3) | instskip(NEXT) | instid1(VALU_DEP_3)
	v_ldexp_f64 v[34:35], v[94:95], -2
	v_add_f64_e64 v[10:11], v[10:11], -v[70:71]
	v_add_f64_e32 v[70:71], v[96:97], v[98:99]
	s_delay_alu instid0(VALU_DEP_3) | instskip(NEXT) | instid1(VALU_DEP_3)
	v_cmp_neq_f64_e64 vcc_lo, 0x7ff00000, |v[34:35]|
	v_add_f64_e32 v[10:11], v[12:13], v[10:11]
	v_fract_f64_e32 v[12:13], v[34:35]
	s_delay_alu instid0(VALU_DEP_1) | instskip(NEXT) | instid1(VALU_DEP_1)
	v_ldexp_f64 v[12:13], v[12:13], 2
	v_cndmask_b32_e32 v13, 0, v13, vcc_lo
	v_add_f64_e64 v[8:9], v[94:95], -v[8:9]
	s_delay_alu instid0(VALU_DEP_3) | instskip(NEXT) | instid1(VALU_DEP_2)
	v_cndmask_b32_e32 v12, 0, v12, vcc_lo
	v_add_f64_e64 v[8:9], v[30:31], -v[8:9]
	v_add_f64_e32 v[30:31], v[70:71], v[10:11]
	s_delay_alu instid0(VALU_DEP_1) | instskip(SKIP_1) | instid1(VALU_DEP_2)
	v_add_f64_e32 v[34:35], v[8:9], v[30:31]
	v_add_f64_e64 v[102:103], v[30:31], -v[70:71]
	v_add_f64_e32 v[94:95], v[34:35], v[12:13]
	s_delay_alu instid0(VALU_DEP_2) | instskip(SKIP_2) | instid1(VALU_DEP_4)
	v_add_f64_e64 v[108:109], v[30:31], -v[102:103]
	v_add_f64_e64 v[10:11], v[10:11], -v[102:103]
	;; [unrolled: 1-line block ×3, first 2 shown]
	v_cmp_gt_f64_e32 vcc_lo, 0, v[94:95]
	v_add_f64_e64 v[94:95], v[70:71], -v[96:97]
	s_delay_alu instid0(VALU_DEP_3) | instskip(SKIP_1) | instid1(VALU_DEP_3)
	v_add_f64_e64 v[8:9], v[30:31], -v[8:9]
	v_cndmask_b32_e64 v101, 0, 0x40100000, vcc_lo
	v_add_f64_e64 v[106:107], v[70:71], -v[94:95]
	v_add_f64_e64 v[94:95], v[98:99], -v[94:95]
	;; [unrolled: 1-line block ×3, first 2 shown]
	s_delay_alu instid0(VALU_DEP_4) | instskip(NEXT) | instid1(VALU_DEP_4)
	v_add_f64_e32 v[12:13], v[12:13], v[100:101]
	v_add_f64_e64 v[98:99], v[96:97], -v[106:107]
	s_delay_alu instid0(VALU_DEP_3) | instskip(NEXT) | instid1(VALU_DEP_3)
	v_add_f64_e32 v[10:11], v[10:11], v[70:71]
	v_add_f64_e32 v[104:105], v[34:35], v[12:13]
	s_delay_alu instid0(VALU_DEP_3) | instskip(NEXT) | instid1(VALU_DEP_2)
	v_add_f64_e32 v[94:95], v[94:95], v[98:99]
	v_cvt_i32_f64_e32 v4, v[104:105]
	s_delay_alu instid0(VALU_DEP_2) | instskip(NEXT) | instid1(VALU_DEP_2)
	v_add_f64_e32 v[10:11], v[94:95], v[10:11]
	v_cvt_f64_i32_e32 v[102:103], v4
	s_delay_alu instid0(VALU_DEP_2) | instskip(NEXT) | instid1(VALU_DEP_2)
	v_add_f64_e32 v[6:7], v[6:7], v[10:11]
	v_add_f64_e64 v[12:13], v[12:13], -v[102:103]
	s_delay_alu instid0(VALU_DEP_2) | instskip(NEXT) | instid1(VALU_DEP_2)
	v_add_f64_e32 v[6:7], v[8:9], v[6:7]
	v_add_f64_e32 v[70:71], v[34:35], v[12:13]
	s_delay_alu instid0(VALU_DEP_1) | instskip(SKIP_1) | instid1(VALU_DEP_2)
	v_add_f64_e64 v[10:11], v[70:71], -v[12:13]
	v_cmp_le_f64_e32 vcc_lo, 0.5, v[70:71]
	v_add_f64_e64 v[8:9], v[34:35], -v[10:11]
	v_cndmask_b32_e64 v101, 0, 0x3ff00000, vcc_lo
	v_add_co_ci_u32_e64 v90, null, 0, v4, vcc_lo
	s_delay_alu instid0(VALU_DEP_3) | instskip(NEXT) | instid1(VALU_DEP_3)
	v_add_f64_e32 v[6:7], v[6:7], v[8:9]
	v_add_f64_e64 v[8:9], v[70:71], -v[100:101]
	s_delay_alu instid0(VALU_DEP_1) | instskip(NEXT) | instid1(VALU_DEP_1)
	v_add_f64_e32 v[10:11], v[8:9], v[6:7]
	v_mul_f64_e32 v[12:13], 0x3ff921fb54442d18, v[10:11]
	v_add_f64_e64 v[8:9], v[10:11], -v[8:9]
	s_delay_alu instid0(VALU_DEP_2) | instskip(NEXT) | instid1(VALU_DEP_2)
	v_fma_f64 v[30:31], v[10:11], s[4:5], -v[12:13]
	v_add_f64_e64 v[6:7], v[6:7], -v[8:9]
	s_delay_alu instid0(VALU_DEP_2) | instskip(NEXT) | instid1(VALU_DEP_1)
	v_fmamk_f64 v[8:9], v[10:11], 0x3c91a62633145c07, v[30:31]
	v_fmac_f64_e32 v[8:9], 0x3ff921fb54442d18, v[6:7]
	s_delay_alu instid0(VALU_DEP_1) | instskip(NEXT) | instid1(VALU_DEP_1)
	v_add_f64_e32 v[6:7], v[12:13], v[8:9]
	v_add_f64_e64 v[10:11], v[6:7], -v[12:13]
	s_delay_alu instid0(VALU_DEP_1)
	v_add_f64_e64 v[70:71], v[8:9], -v[10:11]
	s_and_not1_saveexec_b32 s3, s3
	s_cbranch_execnz .LBB0_71
	s_branch .LBB0_72
.LBB0_70:
	s_and_not1_saveexec_b32 s3, s3
	s_cbranch_execz .LBB0_72
.LBB0_71:
	v_mov_b64_e32 v[4:5], v[112:113]
	s_mov_b64 s[4:5], 0x3fe45f306dc9c883
	s_delay_alu instid0(VALU_DEP_1) | instid1(SALU_CYCLE_1)
	v_mul_f64_e64 v[6:7], |v[4:5]|, s[4:5]
	s_mov_b64 s[4:5], 0xbff921fb54442d18
	s_delay_alu instid0(VALU_DEP_1) | instskip(NEXT) | instid1(VALU_DEP_1)
	v_rndne_f64_e32 v[8:9], v[6:7]
	v_fma_f64 v[6:7], v[8:9], s[4:5], |v[4:5]|
	v_mul_f64_e32 v[10:11], 0xbc91a62633145c00, v[8:9]
	v_cvt_i32_f64_e32 v90, v[8:9]
	s_delay_alu instid0(VALU_DEP_3) | instskip(NEXT) | instid1(VALU_DEP_3)
	v_fmamk_f64 v[34:35], v[8:9], 0xbc91a62633145c00, v[6:7]
	v_add_f64_e32 v[12:13], v[6:7], v[10:11]
	s_delay_alu instid0(VALU_DEP_1) | instskip(NEXT) | instid1(VALU_DEP_3)
	v_add_f64_e64 v[30:31], v[6:7], -v[12:13]
	v_add_f64_e64 v[6:7], v[12:13], -v[34:35]
	s_delay_alu instid0(VALU_DEP_2) | instskip(SKIP_1) | instid1(VALU_DEP_2)
	v_add_f64_e32 v[12:13], v[30:31], v[10:11]
	v_fmamk_f64 v[10:11], v[8:9], 0x3c91a62633145c00, v[10:11]
	v_add_f64_e32 v[6:7], v[6:7], v[12:13]
	s_delay_alu instid0(VALU_DEP_1) | instskip(NEXT) | instid1(VALU_DEP_1)
	v_add_f64_e64 v[6:7], v[6:7], -v[10:11]
	v_fmamk_f64 v[10:11], v[8:9], 0xb97b839a252049c0, v[6:7]
	s_delay_alu instid0(VALU_DEP_1) | instskip(NEXT) | instid1(VALU_DEP_1)
	v_add_f64_e32 v[6:7], v[34:35], v[10:11]
	v_add_f64_e64 v[12:13], v[6:7], -v[34:35]
	s_delay_alu instid0(VALU_DEP_1)
	v_add_f64_e64 v[70:71], v[10:11], -v[12:13]
.LBB0_72:
	s_or_b32 exec_lo, exec_lo, s3
	s_load_b64 s[10:11], s[0:1], 0x0
                                        ; implicit-def: $vgpr80
                                        ; implicit-def: $vgpr30_vgpr31
                                        ; implicit-def: $vgpr34_vgpr35
	s_wait_xcnt 0x0
	s_and_saveexec_b32 s0, s12
	s_delay_alu instid0(SALU_CYCLE_1)
	s_xor_b32 s0, exec_lo, s0
	s_cbranch_execz .LBB0_74
; %bb.73:
	v_mov_b64_e32 v[4:5], v[112:113]
	s_mov_b64 s[4:5], 0x3ff921fb54442d18
	v_mov_b32_e32 v98, 0
	s_delay_alu instid0(VALU_DEP_2) | instskip(SKIP_1) | instid1(VALU_DEP_1)
	v_cmp_le_f64_e64 vcc_lo, 0x7b000000, |v[4:5]|
	v_dual_cndmask_b32 v9, v1, v65 :: v_dual_cndmask_b32 v8, v4, v64
	v_mul_f64_e32 v[10:11], v[62:63], v[8:9]
	v_mul_f64_e32 v[12:13], v[32:33], v[8:9]
	;; [unrolled: 1-line block ×3, first 2 shown]
	s_delay_alu instid0(VALU_DEP_3) | instskip(NEXT) | instid1(VALU_DEP_3)
	v_fma_f64 v[30:31], v[62:63], v[8:9], -v[10:11]
	v_fma_f64 v[32:33], v[32:33], v[8:9], -v[12:13]
	s_delay_alu instid0(VALU_DEP_3) | instskip(NEXT) | instid1(VALU_DEP_3)
	v_fma_f64 v[2:3], v[2:3], v[8:9], -v[96:97]
	v_add_f64_e32 v[34:35], v[12:13], v[30:31]
	s_delay_alu instid0(VALU_DEP_1) | instskip(SKIP_1) | instid1(VALU_DEP_2)
	v_add_f64_e64 v[62:63], v[34:35], -v[12:13]
	v_add_f64_e32 v[94:95], v[10:11], v[34:35]
	v_add_f64_e64 v[64:65], v[34:35], -v[62:63]
	v_add_f64_e64 v[30:31], v[30:31], -v[62:63]
	s_delay_alu instid0(VALU_DEP_3) | instskip(NEXT) | instid1(VALU_DEP_3)
	v_ldexp_f64 v[62:63], v[94:95], -2
	v_add_f64_e64 v[12:13], v[12:13], -v[64:65]
	v_add_f64_e32 v[64:65], v[96:97], v[32:33]
	s_delay_alu instid0(VALU_DEP_3) | instskip(NEXT) | instid1(VALU_DEP_3)
	v_cmp_neq_f64_e64 vcc_lo, 0x7ff00000, |v[62:63]|
	v_add_f64_e32 v[12:13], v[30:31], v[12:13]
	v_fract_f64_e32 v[30:31], v[62:63]
	s_delay_alu instid0(VALU_DEP_1) | instskip(NEXT) | instid1(VALU_DEP_1)
	v_ldexp_f64 v[30:31], v[30:31], 2
	v_cndmask_b32_e32 v31, 0, v31, vcc_lo
	v_add_f64_e64 v[10:11], v[94:95], -v[10:11]
	s_delay_alu instid0(VALU_DEP_3) | instskip(NEXT) | instid1(VALU_DEP_2)
	v_cndmask_b32_e32 v30, 0, v30, vcc_lo
	v_add_f64_e64 v[10:11], v[34:35], -v[10:11]
	v_add_f64_e32 v[34:35], v[64:65], v[12:13]
	s_delay_alu instid0(VALU_DEP_1) | instskip(SKIP_1) | instid1(VALU_DEP_2)
	v_add_f64_e32 v[62:63], v[10:11], v[34:35]
	v_add_f64_e64 v[100:101], v[34:35], -v[64:65]
	v_add_f64_e32 v[94:95], v[62:63], v[30:31]
	s_delay_alu instid0(VALU_DEP_2) | instskip(SKIP_2) | instid1(VALU_DEP_4)
	v_add_f64_e64 v[106:107], v[34:35], -v[100:101]
	v_add_f64_e64 v[12:13], v[12:13], -v[100:101]
	;; [unrolled: 1-line block ×3, first 2 shown]
	v_cmp_gt_f64_e32 vcc_lo, 0, v[94:95]
	v_add_f64_e64 v[94:95], v[64:65], -v[96:97]
	s_delay_alu instid0(VALU_DEP_3) | instskip(SKIP_1) | instid1(VALU_DEP_3)
	v_add_f64_e64 v[8:9], v[34:35], -v[8:9]
	v_cndmask_b32_e64 v99, 0, 0x40100000, vcc_lo
	v_add_f64_e64 v[104:105], v[64:65], -v[94:95]
	v_add_f64_e64 v[32:33], v[32:33], -v[94:95]
	;; [unrolled: 1-line block ×3, first 2 shown]
	s_delay_alu instid0(VALU_DEP_4) | instskip(NEXT) | instid1(VALU_DEP_4)
	v_add_f64_e32 v[30:31], v[30:31], v[98:99]
	v_add_f64_e64 v[94:95], v[96:97], -v[104:105]
	s_delay_alu instid0(VALU_DEP_3) | instskip(NEXT) | instid1(VALU_DEP_3)
	v_add_f64_e32 v[12:13], v[12:13], v[64:65]
	v_add_f64_e32 v[102:103], v[62:63], v[30:31]
	s_delay_alu instid0(VALU_DEP_3) | instskip(NEXT) | instid1(VALU_DEP_2)
	v_add_f64_e32 v[32:33], v[32:33], v[94:95]
	v_cvt_i32_f64_e32 v1, v[102:103]
	s_delay_alu instid0(VALU_DEP_2) | instskip(NEXT) | instid1(VALU_DEP_2)
	v_add_f64_e32 v[10:11], v[32:33], v[12:13]
	v_cvt_f64_i32_e32 v[100:101], v1
	s_delay_alu instid0(VALU_DEP_2) | instskip(NEXT) | instid1(VALU_DEP_2)
	v_add_f64_e32 v[2:3], v[2:3], v[10:11]
	v_add_f64_e64 v[30:31], v[30:31], -v[100:101]
	s_delay_alu instid0(VALU_DEP_2) | instskip(NEXT) | instid1(VALU_DEP_2)
	v_add_f64_e32 v[2:3], v[8:9], v[2:3]
	v_add_f64_e32 v[12:13], v[62:63], v[30:31]
	s_delay_alu instid0(VALU_DEP_1) | instskip(SKIP_1) | instid1(VALU_DEP_2)
	v_add_f64_e64 v[10:11], v[12:13], -v[30:31]
	v_cmp_le_f64_e32 vcc_lo, 0.5, v[12:13]
	v_add_f64_e64 v[8:9], v[62:63], -v[10:11]
	v_cndmask_b32_e64 v99, 0, 0x3ff00000, vcc_lo
	v_add_co_ci_u32_e64 v80, null, 0, v1, vcc_lo
	s_delay_alu instid0(VALU_DEP_3) | instskip(NEXT) | instid1(VALU_DEP_3)
	v_add_f64_e32 v[2:3], v[2:3], v[8:9]
	v_add_f64_e64 v[8:9], v[12:13], -v[98:99]
	s_delay_alu instid0(VALU_DEP_1) | instskip(NEXT) | instid1(VALU_DEP_1)
	v_add_f64_e32 v[10:11], v[8:9], v[2:3]
	v_mul_f64_e32 v[12:13], 0x3ff921fb54442d18, v[10:11]
	v_add_f64_e64 v[8:9], v[10:11], -v[8:9]
	s_delay_alu instid0(VALU_DEP_2) | instskip(NEXT) | instid1(VALU_DEP_2)
	v_fma_f64 v[30:31], v[10:11], s[4:5], -v[12:13]
	v_add_f64_e64 v[2:3], v[2:3], -v[8:9]
	s_delay_alu instid0(VALU_DEP_2) | instskip(NEXT) | instid1(VALU_DEP_1)
	v_fmamk_f64 v[8:9], v[10:11], 0x3c91a62633145c07, v[30:31]
	v_fmac_f64_e32 v[8:9], 0x3ff921fb54442d18, v[2:3]
	s_delay_alu instid0(VALU_DEP_1) | instskip(NEXT) | instid1(VALU_DEP_1)
	v_add_f64_e32 v[30:31], v[12:13], v[8:9]
	v_add_f64_e64 v[2:3], v[30:31], -v[12:13]
	s_delay_alu instid0(VALU_DEP_1)
	v_add_f64_e64 v[34:35], v[8:9], -v[2:3]
.LBB0_74:
	s_or_saveexec_b32 s0, s0
	v_mul_f64_e64 v[8:9], s[8:9], s[8:9]
	s_xor_b32 exec_lo, exec_lo, s0
	s_cbranch_execz .LBB0_76
; %bb.75:
	v_mov_b64_e32 v[4:5], v[112:113]
	s_mov_b64 s[4:5], 0x3fe45f306dc9c883
	s_delay_alu instid0(VALU_DEP_1) | instid1(SALU_CYCLE_1)
	v_mul_f64_e64 v[2:3], |v[4:5]|, s[4:5]
	s_mov_b64 s[4:5], 0xbff921fb54442d18
	s_delay_alu instid0(VALU_DEP_1) | instskip(NEXT) | instid1(VALU_DEP_1)
	v_rndne_f64_e32 v[2:3], v[2:3]
	v_fma_f64 v[10:11], v[2:3], s[4:5], |v[4:5]|
	v_mul_f64_e32 v[12:13], 0xbc91a62633145c00, v[2:3]
	v_cvt_i32_f64_e32 v80, v[2:3]
	s_delay_alu instid0(VALU_DEP_2) | instskip(NEXT) | instid1(VALU_DEP_1)
	v_add_f64_e32 v[30:31], v[10:11], v[12:13]
	v_add_f64_e64 v[32:33], v[10:11], -v[30:31]
	v_fmamk_f64 v[10:11], v[2:3], 0xbc91a62633145c00, v[10:11]
	s_delay_alu instid0(VALU_DEP_1) | instskip(NEXT) | instid1(VALU_DEP_3)
	v_add_f64_e64 v[30:31], v[30:31], -v[10:11]
	v_add_f64_e32 v[32:33], v[32:33], v[12:13]
	v_fmamk_f64 v[12:13], v[2:3], 0x3c91a62633145c00, v[12:13]
	s_delay_alu instid0(VALU_DEP_2) | instskip(NEXT) | instid1(VALU_DEP_1)
	v_add_f64_e32 v[30:31], v[30:31], v[32:33]
	v_add_f64_e64 v[12:13], v[30:31], -v[12:13]
	s_delay_alu instid0(VALU_DEP_1) | instskip(NEXT) | instid1(VALU_DEP_1)
	v_fmamk_f64 v[12:13], v[2:3], 0xb97b839a252049c0, v[12:13]
	v_add_f64_e32 v[30:31], v[10:11], v[12:13]
	s_delay_alu instid0(VALU_DEP_1) | instskip(NEXT) | instid1(VALU_DEP_1)
	v_add_f64_e64 v[10:11], v[30:31], -v[10:11]
	v_add_f64_e64 v[34:35], v[12:13], -v[10:11]
.LBB0_76:
	s_or_b32 exec_lo, exec_lo, s0
	v_dual_mul_f64 v[2:3], v[74:75], v[74:75] :: v_dual_bitop2_b32 v1, 1, v92 bitop3:0x40
	v_mov_b64_e32 v[96:97], 0x3e21eeb69037ab78
	v_cmp_class_f64_e64 s1, v[114:115], 0x1f8
	v_mov_b64_e32 v[126:127], 0xbe5ae600b42fdfa7
                                        ; implicit-def: $vgpr94_vgpr95
                                        ; implicit-def: $vgpr94_vgpr95
	;; [unrolled: 1-line block ×4, first 2 shown]
	v_bfi_b32 v115, 0x7fffffff, v115, v27
	v_cmp_eq_u32_e32 vcc_lo, 0, v1
	s_mov_b64 s[4:5], 0x3fe5555555555555
	s_mov_b32 s12, 0x3ff00000
	s_mov_b32 s22, 0
	s_mov_b64 s[16:17], 0x3e45798ee2308c3a
	s_mov_b64 s[18:19], 0x3f931ddb9af15610
	;; [unrolled: 1-line block ×3, first 2 shown]
                                        ; implicit-def: $sgpr23
	v_lshlrev_b32_e32 v5, 30, v91
	s_delay_alu instid0(VALU_DEP_1) | instskip(SKIP_3) | instid1(VALU_DEP_2)
	v_xor_b32_e32 v5, v5, v115
	v_mul_f64_e32 v[10:11], 0.5, v[2:3]
	v_fmamk_f64 v[64:65], v[2:3], 0xbda907db46cc5e42, v[96:97]
	v_mul_f64_e32 v[62:63], v[2:3], v[2:3]
	v_fmaak_f64 v[64:65], v[2:3], v[64:65], 0xbe927e4fa17f65f6
	s_delay_alu instid0(VALU_DEP_1) | instskip(NEXT) | instid1(VALU_DEP_1)
	v_fmaak_f64 v[64:65], v[2:3], v[64:65], 0x3efa01a019f4ec90
	v_fmaak_f64 v[64:65], v[2:3], v[64:65], 0xbf56c16c16c16967
	s_delay_alu instid0(VALU_DEP_1) | instskip(SKIP_1) | instid1(VALU_DEP_1)
	v_fmaak_f64 v[64:65], v[2:3], v[64:65], 0x3fa5555555555555
	v_add_f64_e64 v[12:13], -v[10:11], 1.0
	v_add_f64_e64 v[32:33], -v[12:13], 1.0
	s_delay_alu instid0(VALU_DEP_1) | instskip(SKIP_1) | instid1(VALU_DEP_1)
	v_add_f64_e64 v[32:33], v[32:33], -v[10:11]
	v_mov_b64_e32 v[10:11], v[112:113]
	v_cmp_class_f64_e64 s0, v[10:11], 0x1f8
	s_delay_alu instid0(VALU_DEP_3) | instskip(NEXT) | instid1(VALU_DEP_1)
	v_fma_f64 v[32:33], v[74:75], -v[76:77], v[32:33]
	v_fmac_f64_e32 v[32:33], v[62:63], v[64:65]
                                        ; implicit-def: $vgpr64_vgpr65
                                        ; implicit-def: $vgpr64_vgpr65
	;; [unrolled: 1-line block ×3, first 2 shown]
	v_fmamk_f64 v[62:63], v[2:3], 0x3de5e0b2f9a43bb8, v[126:127]
	v_mul_f64_e64 v[64:65], v[74:75], -v[2:3]
	s_delay_alu instid0(VALU_DEP_2) | instskip(NEXT) | instid1(VALU_DEP_1)
	v_fmaak_f64 v[62:63], v[2:3], v[62:63], 0x3ec71de3796cde01
	v_fmaak_f64 v[62:63], v[2:3], v[62:63], 0xbf2a01a019e83e5c
	s_delay_alu instid0(VALU_DEP_1) | instskip(SKIP_3) | instid1(VALU_DEP_2)
	v_fmaak_f64 v[62:63], v[2:3], v[62:63], 0x3f81111111110bb3
	v_add_f64_e32 v[32:33], v[12:13], v[32:33]
	v_mul_f64_e32 v[94:95], 0.5, v[76:77]
	v_mov_b64_e32 v[12:13], 0x3fba6564968915a9
	v_fmac_f64_e32 v[94:95], v[64:65], v[62:63]
	s_delay_alu instid0(VALU_DEP_1) | instskip(NEXT) | instid1(VALU_DEP_1)
	v_fma_f64 v[2:3], v[2:3], v[94:95], -v[76:77]
	v_fmac_f64_e32 v[2:3], 0xbfc5555555555555, v[64:65]
	s_delay_alu instid0(VALU_DEP_1) | instskip(NEXT) | instid1(VALU_DEP_1)
	v_add_f64_e64 v[2:3], v[74:75], -v[2:3]
	v_dual_cndmask_b32 v1, v32, v2 :: v_dual_cndmask_b32 v2, v33, v3
	v_mul_f64_e32 v[32:33], v[28:29], v[28:29]
	v_lshlrev_b32_e32 v3, 30, v92
	s_delay_alu instid0(VALU_DEP_1) | instskip(NEXT) | instid1(VALU_DEP_1)
	v_xor_b32_e32 v3, s7, v3
	v_and_b32_e32 v3, 0x80000000, v3
	s_delay_alu instid0(VALU_DEP_1) | instskip(SKIP_2) | instid1(VALU_DEP_3)
	v_dual_mul_f64 v[62:63], 0.5, v[32:33] :: v_dual_bitop2_b32 v3, v2, v3 bitop3:0x14
	v_dual_cndmask_b32 v2, 0, v1, s2 :: v_dual_bitop2_b32 v1, 1, v91 bitop3:0x40
	v_fmamk_f64 v[76:77], v[32:33], 0xbda907db46cc5e42, v[96:97]
	v_cndmask_b32_e64 v3, 0x7ff80000, v3, s2
	s_delay_alu instid0(VALU_DEP_3) | instskip(NEXT) | instid1(VALU_DEP_3)
	v_cmp_eq_u32_e32 vcc_lo, 0, v1
	v_fmaak_f64 v[76:77], v[32:33], v[76:77], 0xbe927e4fa17f65f6
	s_delay_alu instid0(VALU_DEP_1) | instskip(NEXT) | instid1(VALU_DEP_1)
	v_fmaak_f64 v[76:77], v[32:33], v[76:77], 0x3efa01a019f4ec90
	v_fmaak_f64 v[76:77], v[32:33], v[76:77], 0xbf56c16c16c16967
	v_add_f64_e64 v[64:65], -v[62:63], 1.0
	s_delay_alu instid0(VALU_DEP_2) | instskip(NEXT) | instid1(VALU_DEP_2)
	v_fmaak_f64 v[76:77], v[32:33], v[76:77], 0x3fa5555555555555
	v_add_f64_e64 v[74:75], -v[64:65], 1.0
	s_delay_alu instid0(VALU_DEP_1) | instskip(SKIP_1) | instid1(VALU_DEP_2)
	v_add_f64_e64 v[62:63], v[74:75], -v[62:63]
	v_mul_f64_e32 v[74:75], v[32:33], v[32:33]
	v_fma_f64 v[62:63], v[28:29], -v[72:73], v[62:63]
	s_delay_alu instid0(VALU_DEP_1) | instskip(SKIP_2) | instid1(VALU_DEP_3)
	v_fmac_f64_e32 v[62:63], v[74:75], v[76:77]
	v_mul_f64_e64 v[74:75], v[28:29], -v[32:33]
	v_mul_f64_e32 v[76:77], 0.5, v[72:73]
	v_add_f64_e32 v[62:63], v[64:65], v[62:63]
	v_fmamk_f64 v[64:65], v[32:33], 0x3de5e0b2f9a43bb8, v[126:127]
	s_delay_alu instid0(VALU_DEP_1) | instskip(NEXT) | instid1(VALU_DEP_1)
	v_fmaak_f64 v[64:65], v[32:33], v[64:65], 0x3ec71de3796cde01
	v_fmaak_f64 v[64:65], v[32:33], v[64:65], 0xbf2a01a019e83e5c
	s_delay_alu instid0(VALU_DEP_1) | instskip(NEXT) | instid1(VALU_DEP_1)
	v_fmaak_f64 v[64:65], v[32:33], v[64:65], 0x3f81111111110bb3
	v_fmac_f64_e32 v[76:77], v[74:75], v[64:65]
	s_delay_alu instid0(VALU_DEP_1) | instskip(NEXT) | instid1(VALU_DEP_1)
	v_fma_f64 v[32:33], v[32:33], v[76:77], -v[72:73]
	v_fmac_f64_e32 v[32:33], 0xbfc5555555555555, v[74:75]
	s_delay_alu instid0(VALU_DEP_1) | instskip(NEXT) | instid1(VALU_DEP_1)
	v_add_f64_e64 v[28:29], v[28:29], -v[32:33]
	v_cndmask_b32_e32 v4, v63, v29, vcc_lo
	s_delay_alu instid0(VALU_DEP_1) | instskip(NEXT) | instid1(VALU_DEP_3)
	v_bitop3_b32 v4, v4, v5, 0x80000000 bitop3:0x78
	v_dual_lshlrev_b32 v5, 30, v90 :: v_dual_cndmask_b32 v1, v62, v28, vcc_lo
	s_delay_alu instid0(VALU_DEP_2) | instskip(NEXT) | instid1(VALU_DEP_2)
	v_cndmask_b32_e64 v29, 0x7ff80000, v4, s1
	v_dual_cndmask_b32 v28, 0, v1, s1 :: v_dual_bitop2_b32 v5, v5, v11 bitop3:0x14
	s_delay_alu instid0(VALU_DEP_1) | instskip(SKIP_1) | instid1(VALU_DEP_1)
	v_mul_f64_e64 v[32:33], -v[2:3], v[28:29]
	v_fma_f64 v[2:3], v[110:111], v[110:111], v[8:9]
	v_cmp_gt_f64_e32 vcc_lo, 0x10000000, v[2:3]
	v_cndmask_b32_e64 v1, 0, 0x100, vcc_lo
	s_delay_alu instid0(VALU_DEP_1) | instskip(SKIP_1) | instid1(VALU_DEP_2)
	v_ldexp_f64 v[2:3], v[2:3], v1
	v_cndmask_b32_e64 v1, 0, 0xffffff80, vcc_lo
	v_rsq_f64_e32 v[62:63], v[2:3]
	v_cmp_class_f64_e64 vcc_lo, v[2:3], 0x260
	s_delay_alu instid0(TRANS32_DEP_1) | instskip(SKIP_1) | instid1(VALU_DEP_1)
	v_mul_f64_e32 v[64:65], v[2:3], v[62:63]
	v_mul_f64_e32 v[62:63], 0.5, v[62:63]
	v_fma_f64 v[72:73], -v[62:63], v[64:65], 0.5
	s_delay_alu instid0(VALU_DEP_1) | instskip(SKIP_1) | instid1(VALU_DEP_2)
	v_fmac_f64_e32 v[64:65], v[64:65], v[72:73]
	v_fmac_f64_e32 v[62:63], v[62:63], v[72:73]
	v_fma_f64 v[74:75], -v[64:65], v[64:65], v[2:3]
	s_delay_alu instid0(VALU_DEP_1) | instskip(NEXT) | instid1(VALU_DEP_1)
	v_fmac_f64_e32 v[64:65], v[74:75], v[62:63]
	v_fma_f64 v[72:73], -v[64:65], v[64:65], v[2:3]
	s_delay_alu instid0(VALU_DEP_1) | instskip(NEXT) | instid1(VALU_DEP_1)
	v_fmac_f64_e32 v[64:65], v[72:73], v[62:63]
	v_ldexp_f64 v[62:63], v[64:65], v1
	s_delay_alu instid0(VALU_DEP_1) | instskip(NEXT) | instid1(VALU_DEP_2)
	v_dual_cndmask_b32 v3, v63, v3, vcc_lo :: v_dual_bitop2_b32 v1, 1, v90 bitop3:0x40
	v_cndmask_b32_e32 v2, v62, v2, vcc_lo
	v_mul_f64_e32 v[62:63], v[6:7], v[6:7]
	s_delay_alu instid0(VALU_DEP_3) | instskip(NEXT) | instid1(VALU_DEP_2)
	v_cmp_eq_u32_e32 vcc_lo, 0, v1
	v_mul_f64_e32 v[64:65], 0.5, v[62:63]
	v_fmamk_f64 v[76:77], v[62:63], 0xbda907db46cc5e42, v[96:97]
	s_delay_alu instid0(VALU_DEP_1) | instskip(NEXT) | instid1(VALU_DEP_1)
	v_fmaak_f64 v[76:77], v[62:63], v[76:77], 0xbe927e4fa17f65f6
	v_fmaak_f64 v[76:77], v[62:63], v[76:77], 0x3efa01a019f4ec90
	s_delay_alu instid0(VALU_DEP_1) | instskip(NEXT) | instid1(VALU_DEP_1)
	v_fmaak_f64 v[76:77], v[62:63], v[76:77], 0xbf56c16c16c16967
	v_fmaak_f64 v[76:77], v[62:63], v[76:77], 0x3fa5555555555555
	v_add_f64_e64 v[72:73], -v[64:65], 1.0
	s_delay_alu instid0(VALU_DEP_1) | instskip(NEXT) | instid1(VALU_DEP_1)
	v_add_f64_e64 v[74:75], -v[72:73], 1.0
	v_add_f64_e64 v[64:65], v[74:75], -v[64:65]
	v_mul_f64_e32 v[74:75], v[62:63], v[62:63]
	s_delay_alu instid0(VALU_DEP_2) | instskip(NEXT) | instid1(VALU_DEP_1)
	v_fma_f64 v[64:65], v[6:7], -v[70:71], v[64:65]
	v_fmac_f64_e32 v[64:65], v[74:75], v[76:77]
	v_mul_f64_e64 v[74:75], v[6:7], -v[62:63]
	v_mul_f64_e32 v[76:77], 0.5, v[70:71]
	s_delay_alu instid0(VALU_DEP_3) | instskip(SKIP_1) | instid1(VALU_DEP_1)
	v_add_f64_e32 v[64:65], v[72:73], v[64:65]
	v_fmamk_f64 v[72:73], v[62:63], 0x3de5e0b2f9a43bb8, v[126:127]
	v_fmaak_f64 v[72:73], v[62:63], v[72:73], 0x3ec71de3796cde01
	s_delay_alu instid0(VALU_DEP_1) | instskip(NEXT) | instid1(VALU_DEP_1)
	v_fmaak_f64 v[72:73], v[62:63], v[72:73], 0xbf2a01a019e83e5c
	v_fmaak_f64 v[72:73], v[62:63], v[72:73], 0x3f81111111110bb3
	s_delay_alu instid0(VALU_DEP_1) | instskip(NEXT) | instid1(VALU_DEP_1)
	v_fmac_f64_e32 v[76:77], v[74:75], v[72:73]
	v_fma_f64 v[62:63], v[62:63], v[76:77], -v[70:71]
	s_delay_alu instid0(VALU_DEP_1) | instskip(NEXT) | instid1(VALU_DEP_1)
	v_fmac_f64_e32 v[62:63], 0xbfc5555555555555, v[74:75]
	v_add_f64_e64 v[6:7], v[6:7], -v[62:63]
	s_delay_alu instid0(VALU_DEP_1) | instskip(NEXT) | instid1(VALU_DEP_1)
	v_dual_cndmask_b32 v4, v65, v7 :: v_dual_cndmask_b32 v1, v64, v6
	v_bitop3_b32 v4, v4, v5, 0x80000000 bitop3:0x78
	s_delay_alu instid0(VALU_DEP_2) | instskip(SKIP_1) | instid1(VALU_DEP_3)
	v_cndmask_b32_e64 v6, 0, v1, s0
	v_lshlrev_b32_e32 v5, 30, v89
	v_cndmask_b32_e64 v7, 0x7ff80000, v4, s0
	v_and_b32_e32 v4, 1, v89
	s_delay_alu instid0(VALU_DEP_3) | instskip(NEXT) | instid1(VALU_DEP_3)
	v_and_b32_e32 v5, 0x80000000, v5
	v_mul_f64_e32 v[6:7], v[2:3], v[6:7]
	s_delay_alu instid0(VALU_DEP_1) | instskip(NEXT) | instid1(VALU_DEP_1)
	v_div_scale_f64 v[62:63], null, v[6:7], v[6:7], v[32:33]
	v_rcp_f64_e32 v[64:65], v[62:63]
	v_nop
	s_delay_alu instid0(TRANS32_DEP_1) | instskip(NEXT) | instid1(VALU_DEP_1)
	v_fma_f64 v[70:71], -v[62:63], v[64:65], 1.0
	v_fmac_f64_e32 v[64:65], v[64:65], v[70:71]
	s_delay_alu instid0(VALU_DEP_1) | instskip(NEXT) | instid1(VALU_DEP_1)
	v_fma_f64 v[70:71], -v[62:63], v[64:65], 1.0
	v_fmac_f64_e32 v[64:65], v[64:65], v[70:71]
	v_div_scale_f64 v[70:71], vcc_lo, v[32:33], v[6:7], v[32:33]
	s_delay_alu instid0(VALU_DEP_1) | instskip(NEXT) | instid1(VALU_DEP_1)
	v_mul_f64_e32 v[72:73], v[70:71], v[64:65]
	v_fma_f64 v[62:63], -v[62:63], v[72:73], v[70:71]
	s_delay_alu instid0(VALU_DEP_1) | instskip(SKIP_1) | instid1(VALU_DEP_2)
	v_div_fmas_f64 v[62:63], v[62:63], v[64:65], v[72:73]
	v_cmp_eq_u32_e32 vcc_lo, 0, v4
	v_div_fixup_f64 v[32:33], v[62:63], v[6:7], v[32:33]
	v_mul_f64_e32 v[6:7], v[66:67], v[66:67]
	s_delay_alu instid0(VALU_DEP_1) | instskip(SKIP_1) | instid1(VALU_DEP_1)
	v_mul_f64_e32 v[62:63], 0.5, v[6:7]
	v_fmamk_f64 v[72:73], v[6:7], 0xbda907db46cc5e42, v[96:97]
	v_fmaak_f64 v[72:73], v[6:7], v[72:73], 0xbe927e4fa17f65f6
	s_delay_alu instid0(VALU_DEP_1) | instskip(NEXT) | instid1(VALU_DEP_1)
	v_fmaak_f64 v[72:73], v[6:7], v[72:73], 0x3efa01a019f4ec90
	v_fmaak_f64 v[72:73], v[6:7], v[72:73], 0xbf56c16c16c16967
	s_delay_alu instid0(VALU_DEP_1) | instskip(SKIP_1) | instid1(VALU_DEP_1)
	v_fmaak_f64 v[72:73], v[6:7], v[72:73], 0x3fa5555555555555
	v_add_f64_e64 v[64:65], -v[62:63], 1.0
	v_add_f64_e64 v[70:71], -v[64:65], 1.0
	s_delay_alu instid0(VALU_DEP_1) | instskip(SKIP_1) | instid1(VALU_DEP_2)
	v_add_f64_e64 v[62:63], v[70:71], -v[62:63]
	v_mul_f64_e32 v[70:71], v[6:7], v[6:7]
	v_fma_f64 v[62:63], v[66:67], -v[68:69], v[62:63]
	s_delay_alu instid0(VALU_DEP_1) | instskip(SKIP_1) | instid1(VALU_DEP_2)
	v_fmac_f64_e32 v[62:63], v[70:71], v[72:73]
	v_mul_f64_e32 v[72:73], 0.5, v[68:69]
	v_add_f64_e32 v[62:63], v[64:65], v[62:63]
	v_fmamk_f64 v[64:65], v[6:7], 0x3de5e0b2f9a43bb8, v[126:127]
	s_delay_alu instid0(VALU_DEP_1) | instskip(NEXT) | instid1(VALU_DEP_1)
	v_fmaak_f64 v[64:65], v[6:7], v[64:65], 0x3ec71de3796cde01
	v_fmaak_f64 v[64:65], v[6:7], v[64:65], 0xbf2a01a019e83e5c
	s_delay_alu instid0(VALU_DEP_1) | instskip(SKIP_1) | instid1(VALU_DEP_1)
	v_fmaak_f64 v[70:71], v[6:7], v[64:65], 0x3f81111111110bb3
	v_mul_f64_e64 v[64:65], v[66:67], -v[6:7]
	v_fmac_f64_e32 v[72:73], v[64:65], v[70:71]
	s_delay_alu instid0(VALU_DEP_1) | instskip(NEXT) | instid1(VALU_DEP_1)
	v_fma_f64 v[6:7], v[6:7], v[72:73], -v[68:69]
	v_fmac_f64_e32 v[6:7], 0xbfc5555555555555, v[64:65]
	s_delay_alu instid0(VALU_DEP_1) | instskip(NEXT) | instid1(VALU_DEP_1)
	v_add_f64_e64 v[6:7], v[66:67], -v[6:7]
	v_xor_b32_e32 v1, 0x80000000, v7
	s_delay_alu instid0(VALU_DEP_1) | instskip(SKIP_1) | instid1(VALU_DEP_2)
	v_dual_cndmask_b32 v4, v6, v62 :: v_dual_cndmask_b32 v1, v1, v63
	v_mul_f64_e32 v[62:63], v[36:37], v[36:37]
	v_dual_cndmask_b32 v6, 0, v4, s2 :: v_dual_bitop2_b32 v1, v1, v5 bitop3:0x14
	v_lshlrev_b32_e32 v5, 30, v86
	s_delay_alu instid0(VALU_DEP_2) | instskip(SKIP_1) | instid1(VALU_DEP_3)
	v_cndmask_b32_e64 v7, 0x7ff80000, v1, s2
	v_and_b32_e32 v1, 1, v86
	v_xor_b32_e32 v5, s7, v5
	s_mov_b64 s[6:7], 0x3fe62e42fefa39ef
	s_delay_alu instid0(VALU_DEP_3) | instskip(NEXT) | instid1(VALU_DEP_3)
	v_mul_f64_e32 v[6:7], v[110:111], v[6:7]
	v_cmp_eq_u32_e32 vcc_lo, 0, v1
	s_delay_alu instid0(VALU_DEP_3) | instskip(SKIP_2) | instid1(VALU_DEP_1)
	v_and_b32_e32 v5, 0x80000000, v5
	v_mul_f64_e32 v[64:65], 0.5, v[62:63]
	v_fmamk_f64 v[70:71], v[62:63], 0xbda907db46cc5e42, v[96:97]
	v_fmaak_f64 v[70:71], v[62:63], v[70:71], 0xbe927e4fa17f65f6
	s_delay_alu instid0(VALU_DEP_1) | instskip(NEXT) | instid1(VALU_DEP_1)
	v_fmaak_f64 v[70:71], v[62:63], v[70:71], 0x3efa01a019f4ec90
	v_fmaak_f64 v[70:71], v[62:63], v[70:71], 0xbf56c16c16c16967
	s_delay_alu instid0(VALU_DEP_1) | instskip(SKIP_1) | instid1(VALU_DEP_1)
	v_fmaak_f64 v[70:71], v[62:63], v[70:71], 0x3fa5555555555555
	v_add_f64_e64 v[66:67], -v[64:65], 1.0
	v_add_f64_e64 v[68:69], -v[66:67], 1.0
	s_delay_alu instid0(VALU_DEP_1) | instskip(SKIP_1) | instid1(VALU_DEP_2)
	v_add_f64_e64 v[64:65], v[68:69], -v[64:65]
	v_mul_f64_e32 v[68:69], v[62:63], v[62:63]
	v_fma_f64 v[64:65], v[36:37], -v[38:39], v[64:65]
	s_delay_alu instid0(VALU_DEP_1) | instskip(SKIP_2) | instid1(VALU_DEP_3)
	v_fmac_f64_e32 v[64:65], v[68:69], v[70:71]
	v_mul_f64_e64 v[68:69], v[36:37], -v[62:63]
	v_mul_f64_e32 v[70:71], 0.5, v[38:39]
	v_add_f64_e32 v[64:65], v[66:67], v[64:65]
	v_fmamk_f64 v[66:67], v[62:63], 0x3de5e0b2f9a43bb8, v[126:127]
	s_delay_alu instid0(VALU_DEP_1) | instskip(NEXT) | instid1(VALU_DEP_1)
	v_fmaak_f64 v[66:67], v[62:63], v[66:67], 0x3ec71de3796cde01
	v_fmaak_f64 v[66:67], v[62:63], v[66:67], 0xbf2a01a019e83e5c
	s_delay_alu instid0(VALU_DEP_1) | instskip(NEXT) | instid1(VALU_DEP_1)
	v_fmaak_f64 v[66:67], v[62:63], v[66:67], 0x3f81111111110bb3
	v_fmac_f64_e32 v[70:71], v[68:69], v[66:67]
	s_delay_alu instid0(VALU_DEP_1) | instskip(NEXT) | instid1(VALU_DEP_1)
	v_fma_f64 v[38:39], v[62:63], v[70:71], -v[38:39]
	v_fmac_f64_e32 v[38:39], 0xbfc5555555555555, v[68:69]
	s_delay_alu instid0(VALU_DEP_1) | instskip(SKIP_1) | instid1(VALU_DEP_2)
	v_add_f64_e64 v[36:37], v[36:37], -v[38:39]
	v_mul_f64_e32 v[38:39], v[50:51], v[50:51]
	v_dual_mul_f64 v[28:29], v[110:111], v[110:111] :: v_dual_cndmask_b32 v1, v64, v36, vcc_lo
	s_delay_alu instid0(VALU_DEP_2) | instskip(SKIP_1) | instid1(VALU_DEP_3)
	v_dual_mul_f64 v[62:63], 0.5, v[38:39] :: v_dual_cndmask_b32 v4, v65, v37, vcc_lo
	v_fmamk_f64 v[68:69], v[38:39], 0xbda907db46cc5e42, v[96:97]
	v_cndmask_b32_e64 v36, 0, v1, s2
	s_delay_alu instid0(VALU_DEP_3) | instskip(NEXT) | instid1(VALU_DEP_3)
	v_dual_lshlrev_b32 v5, 30, v87 :: v_dual_bitop2_b32 v4, v4, v5 bitop3:0x14
	v_fmaak_f64 v[68:69], v[38:39], v[68:69], 0xbe927e4fa17f65f6
	s_delay_alu instid0(VALU_DEP_2) | instskip(SKIP_1) | instid1(VALU_DEP_3)
	v_cndmask_b32_e64 v37, 0x7ff80000, v4, s2
	v_and_b32_e32 v4, 1, v87
	v_fmaak_f64 v[68:69], v[38:39], v[68:69], 0x3efa01a019f4ec90
	s_delay_alu instid0(VALU_DEP_2) | instskip(NEXT) | instid1(VALU_DEP_2)
	v_cmp_eq_u32_e32 vcc_lo, 0, v4
	v_fmaak_f64 v[68:69], v[38:39], v[68:69], 0xbf56c16c16c16967
	s_delay_alu instid0(VALU_DEP_1) | instskip(SKIP_1) | instid1(VALU_DEP_1)
	v_fmaak_f64 v[68:69], v[38:39], v[68:69], 0x3fa5555555555555
	v_add_f64_e64 v[64:65], -v[62:63], 1.0
	v_add_f64_e64 v[66:67], -v[64:65], 1.0
	s_delay_alu instid0(VALU_DEP_1) | instskip(SKIP_1) | instid1(VALU_DEP_2)
	v_add_f64_e64 v[62:63], v[66:67], -v[62:63]
	v_mul_f64_e32 v[66:67], v[38:39], v[38:39]
	v_fma_f64 v[62:63], v[50:51], -v[52:53], v[62:63]
	s_delay_alu instid0(VALU_DEP_1) | instskip(SKIP_2) | instid1(VALU_DEP_3)
	v_fmac_f64_e32 v[62:63], v[66:67], v[68:69]
	v_mul_f64_e64 v[66:67], v[50:51], -v[38:39]
	v_mul_f64_e32 v[68:69], 0.5, v[52:53]
	v_add_f64_e32 v[62:63], v[64:65], v[62:63]
	v_fmamk_f64 v[64:65], v[38:39], 0x3de5e0b2f9a43bb8, v[126:127]
	s_delay_alu instid0(VALU_DEP_1) | instskip(NEXT) | instid1(VALU_DEP_1)
	v_fmaak_f64 v[64:65], v[38:39], v[64:65], 0x3ec71de3796cde01
	v_fmaak_f64 v[64:65], v[38:39], v[64:65], 0xbf2a01a019e83e5c
	s_delay_alu instid0(VALU_DEP_1) | instskip(NEXT) | instid1(VALU_DEP_1)
	v_fmaak_f64 v[64:65], v[38:39], v[64:65], 0x3f81111111110bb3
	v_fmac_f64_e32 v[68:69], v[66:67], v[64:65]
	s_delay_alu instid0(VALU_DEP_1) | instskip(NEXT) | instid1(VALU_DEP_1)
	v_fma_f64 v[38:39], v[38:39], v[68:69], -v[52:53]
	v_fmac_f64_e32 v[38:39], 0xbfc5555555555555, v[66:67]
	s_delay_alu instid0(VALU_DEP_1) | instskip(NEXT) | instid1(VALU_DEP_1)
	v_add_f64_e64 v[38:39], v[50:51], -v[38:39]
	v_xor_b32_e32 v1, 0x80000000, v39
	s_delay_alu instid0(VALU_DEP_1) | instskip(NEXT) | instid1(VALU_DEP_1)
	v_dual_cndmask_b32 v4, v38, v62 :: v_dual_cndmask_b32 v1, v1, v63
	v_cndmask_b32_e64 v38, 0, v4, s1
	s_delay_alu instid0(VALU_DEP_2) | instskip(SKIP_1) | instid1(VALU_DEP_2)
	v_bitop3_b32 v1, v1, v5, 0x80000000 bitop3:0x78
	v_and_b32_e32 v5, 1, v84
	v_cndmask_b32_e64 v39, 0x7ff80000, v1, s1
	v_dual_lshlrev_b32 v0, 30, v0 :: v_dual_bitop2_b32 v1, 1, v0 bitop3:0x40
	s_delay_alu instid0(VALU_DEP_2) | instskip(SKIP_1) | instid1(VALU_DEP_3)
	v_mul_f64_e64 v[50:51], -v[36:37], v[38:39]
	v_mul_f64_e32 v[36:37], v[58:59], v[58:59]
	v_cmp_eq_u32_e32 vcc_lo, 0, v1
	s_delay_alu instid0(VALU_DEP_2) | instskip(SKIP_1) | instid1(VALU_DEP_1)
	v_dual_mul_f64 v[38:39], 0.5, v[36:37] :: v_dual_bitop2_b32 v0, v0, v11 bitop3:0x14
	v_fmamk_f64 v[64:65], v[36:37], 0xbda907db46cc5e42, v[96:97]
	v_fmaak_f64 v[64:65], v[36:37], v[64:65], 0xbe927e4fa17f65f6
	s_delay_alu instid0(VALU_DEP_1) | instskip(NEXT) | instid1(VALU_DEP_1)
	v_fmaak_f64 v[64:65], v[36:37], v[64:65], 0x3efa01a019f4ec90
	v_fmaak_f64 v[64:65], v[36:37], v[64:65], 0xbf56c16c16c16967
	s_delay_alu instid0(VALU_DEP_1) | instskip(SKIP_1) | instid1(VALU_DEP_1)
	v_fmaak_f64 v[64:65], v[36:37], v[64:65], 0x3fa5555555555555
	v_add_f64_e64 v[52:53], -v[38:39], 1.0
	v_add_f64_e64 v[62:63], -v[52:53], 1.0
	s_delay_alu instid0(VALU_DEP_1) | instskip(SKIP_1) | instid1(VALU_DEP_2)
	v_add_f64_e64 v[38:39], v[62:63], -v[38:39]
	v_mul_f64_e32 v[62:63], v[36:37], v[36:37]
	v_fma_f64 v[38:39], v[58:59], -v[60:61], v[38:39]
	s_delay_alu instid0(VALU_DEP_1) | instskip(SKIP_2) | instid1(VALU_DEP_3)
	v_fmac_f64_e32 v[38:39], v[62:63], v[64:65]
	v_mul_f64_e64 v[62:63], v[58:59], -v[36:37]
	v_mul_f64_e32 v[64:65], 0.5, v[60:61]
	v_add_f64_e32 v[38:39], v[52:53], v[38:39]
	v_fmamk_f64 v[52:53], v[36:37], 0x3de5e0b2f9a43bb8, v[126:127]
	s_delay_alu instid0(VALU_DEP_1) | instskip(NEXT) | instid1(VALU_DEP_1)
	v_fmaak_f64 v[52:53], v[36:37], v[52:53], 0x3ec71de3796cde01
	v_fmaak_f64 v[52:53], v[36:37], v[52:53], 0xbf2a01a019e83e5c
	s_delay_alu instid0(VALU_DEP_1) | instskip(NEXT) | instid1(VALU_DEP_1)
	v_fmaak_f64 v[52:53], v[36:37], v[52:53], 0x3f81111111110bb3
	v_fmac_f64_e32 v[64:65], v[62:63], v[52:53]
	v_mul_f64_e32 v[52:53], v[2:3], v[50:51]
	s_delay_alu instid0(VALU_DEP_2) | instskip(SKIP_1) | instid1(VALU_DEP_2)
	v_fma_f64 v[36:37], v[36:37], v[64:65], -v[60:61]
	v_mov_b64_e32 v[64:65], 0x3e21eeb69037ab78
	v_fmac_f64_e32 v[36:37], 0xbfc5555555555555, v[62:63]
	s_delay_alu instid0(VALU_DEP_1) | instskip(NEXT) | instid1(VALU_DEP_1)
	v_add_f64_e64 v[36:37], v[58:59], -v[36:37]
	v_dual_cndmask_b32 v4, v39, v37 :: v_dual_cndmask_b32 v1, v38, v36
	s_delay_alu instid0(VALU_DEP_1) | instskip(NEXT) | instid1(VALU_DEP_2)
	v_bitop3_b32 v0, v4, v0, 0x80000000 bitop3:0x78
	v_dual_cndmask_b32 v38, 0, v1, s0 :: v_dual_bitop2_b32 v4, 1, v82 bitop3:0x40
	s_delay_alu instid0(VALU_DEP_2) | instskip(SKIP_1) | instid1(VALU_DEP_3)
	v_cndmask_b32_e64 v39, 0x7ff80000, v0, s0
	v_mul_f64_e32 v[0:1], v[18:19], v[18:19]
	v_cmp_eq_u32_e32 vcc_lo, 0, v4
	s_delay_alu instid0(VALU_DEP_2) | instskip(SKIP_1) | instid1(VALU_DEP_1)
	v_dual_mul_f64 v[36:37], 0.5, v[0:1] :: v_dual_lshlrev_b32 v4, 30, v82
	v_fmamk_f64 v[62:63], v[0:1], 0xbda907db46cc5e42, v[64:65]
	v_fmaak_f64 v[62:63], v[0:1], v[62:63], 0xbe927e4fa17f65f6
	s_delay_alu instid0(VALU_DEP_1) | instskip(NEXT) | instid1(VALU_DEP_1)
	v_fmaak_f64 v[62:63], v[0:1], v[62:63], 0x3efa01a019f4ec90
	v_fmaak_f64 v[62:63], v[0:1], v[62:63], 0xbf56c16c16c16967
	s_delay_alu instid0(VALU_DEP_1) | instskip(SKIP_1) | instid1(VALU_DEP_1)
	v_fmaak_f64 v[62:63], v[0:1], v[62:63], 0x3fa5555555555555
	v_add_f64_e64 v[58:59], -v[36:37], 1.0
	v_add_f64_e64 v[60:61], -v[58:59], 1.0
	s_delay_alu instid0(VALU_DEP_1) | instskip(SKIP_1) | instid1(VALU_DEP_2)
	v_add_f64_e64 v[36:37], v[60:61], -v[36:37]
	v_mul_f64_e32 v[60:61], v[0:1], v[0:1]
	v_fma_f64 v[36:37], v[18:19], -v[20:21], v[36:37]
	s_delay_alu instid0(VALU_DEP_1) | instskip(SKIP_2) | instid1(VALU_DEP_3)
	v_fmac_f64_e32 v[36:37], v[60:61], v[62:63]
	v_mul_f64_e64 v[60:61], v[18:19], -v[0:1]
	v_mul_f64_e32 v[62:63], 0.5, v[20:21]
	v_add_f64_e32 v[36:37], v[58:59], v[36:37]
	v_fmamk_f64 v[58:59], v[0:1], 0x3de5e0b2f9a43bb8, v[126:127]
	s_delay_alu instid0(VALU_DEP_1) | instskip(NEXT) | instid1(VALU_DEP_1)
	v_fmaak_f64 v[58:59], v[0:1], v[58:59], 0x3ec71de3796cde01
	v_fmaak_f64 v[58:59], v[0:1], v[58:59], 0xbf2a01a019e83e5c
	s_delay_alu instid0(VALU_DEP_1) | instskip(NEXT) | instid1(VALU_DEP_1)
	v_fmaak_f64 v[58:59], v[0:1], v[58:59], 0x3f81111111110bb3
	v_fmac_f64_e32 v[62:63], v[60:61], v[58:59]
	s_delay_alu instid0(VALU_DEP_1) | instskip(NEXT) | instid1(VALU_DEP_1)
	v_fma_f64 v[0:1], v[0:1], v[62:63], -v[20:21]
	v_fmac_f64_e32 v[0:1], 0xbfc5555555555555, v[60:61]
	s_delay_alu instid0(VALU_DEP_1) | instskip(NEXT) | instid1(VALU_DEP_1)
	v_add_f64_e64 v[0:1], v[18:19], -v[0:1]
	v_xor_b32_e32 v1, 0x80000000, v1
	s_delay_alu instid0(VALU_DEP_1) | instskip(NEXT) | instid1(VALU_DEP_1)
	v_dual_cndmask_b32 v0, v0, v36 :: v_dual_cndmask_b32 v1, v1, v37
	v_cndmask_b32_e64 v0, 0, v0, s0
	s_delay_alu instid0(VALU_DEP_2) | instskip(SKIP_1) | instid1(VALU_DEP_2)
	v_bitop3_b32 v1, v1, v4, 0x80000000 bitop3:0x78
	v_and_b32_e32 v4, 1, v81
	v_cndmask_b32_e64 v1, 0x7ff80000, v1, s0
	s_delay_alu instid0(VALU_DEP_2) | instskip(SKIP_1) | instid1(VALU_DEP_3)
	v_cmp_eq_u32_e32 vcc_lo, 0, v4
	v_lshlrev_b32_e32 v4, 30, v81
	v_mul_f64_e32 v[18:19], s[8:9], v[0:1]
	v_mul_f64_e32 v[0:1], v[14:15], v[14:15]
	s_delay_alu instid0(VALU_DEP_1) | instskip(SKIP_1) | instid1(VALU_DEP_1)
	v_mul_f64_e32 v[20:21], 0.5, v[0:1]
	v_fmamk_f64 v[60:61], v[0:1], 0xbda907db46cc5e42, v[64:65]
	v_fmaak_f64 v[60:61], v[0:1], v[60:61], 0xbe927e4fa17f65f6
	s_delay_alu instid0(VALU_DEP_1) | instskip(NEXT) | instid1(VALU_DEP_1)
	v_fmaak_f64 v[60:61], v[0:1], v[60:61], 0x3efa01a019f4ec90
	v_fmaak_f64 v[60:61], v[0:1], v[60:61], 0xbf56c16c16c16967
	s_delay_alu instid0(VALU_DEP_1) | instskip(SKIP_1) | instid1(VALU_DEP_1)
	v_fmaak_f64 v[60:61], v[0:1], v[60:61], 0x3fa5555555555555
	v_add_f64_e64 v[36:37], -v[20:21], 1.0
	v_add_f64_e64 v[58:59], -v[36:37], 1.0
	s_delay_alu instid0(VALU_DEP_1) | instskip(SKIP_1) | instid1(VALU_DEP_2)
	v_add_f64_e64 v[20:21], v[58:59], -v[20:21]
	v_mul_f64_e32 v[58:59], v[0:1], v[0:1]
	v_fma_f64 v[20:21], v[14:15], -v[16:17], v[20:21]
	s_delay_alu instid0(VALU_DEP_1) | instskip(SKIP_2) | instid1(VALU_DEP_3)
	v_fmac_f64_e32 v[20:21], v[58:59], v[60:61]
	v_mul_f64_e64 v[58:59], v[14:15], -v[0:1]
	v_mul_f64_e32 v[60:61], 0.5, v[16:17]
	v_add_f64_e32 v[20:21], v[36:37], v[20:21]
	v_fmamk_f64 v[36:37], v[0:1], 0x3de5e0b2f9a43bb8, v[126:127]
	s_delay_alu instid0(VALU_DEP_1) | instskip(NEXT) | instid1(VALU_DEP_1)
	v_fmaak_f64 v[36:37], v[0:1], v[36:37], 0x3ec71de3796cde01
	v_fmaak_f64 v[36:37], v[0:1], v[36:37], 0xbf2a01a019e83e5c
	s_delay_alu instid0(VALU_DEP_1) | instskip(NEXT) | instid1(VALU_DEP_1)
	v_fmaak_f64 v[36:37], v[0:1], v[36:37], 0x3f81111111110bb3
	v_fmac_f64_e32 v[60:61], v[58:59], v[36:37]
	s_delay_alu instid0(VALU_DEP_1) | instskip(NEXT) | instid1(VALU_DEP_1)
	v_fma_f64 v[0:1], v[0:1], v[60:61], -v[16:17]
	v_fmac_f64_e32 v[0:1], 0xbfc5555555555555, v[58:59]
	s_delay_alu instid0(VALU_DEP_1) | instskip(NEXT) | instid1(VALU_DEP_1)
	v_add_f64_e64 v[0:1], v[14:15], -v[0:1]
	v_xor_b32_e32 v1, 0x80000000, v1
	s_delay_alu instid0(VALU_DEP_1) | instskip(NEXT) | instid1(VALU_DEP_1)
	v_dual_cndmask_b32 v0, v0, v20 :: v_dual_cndmask_b32 v1, v1, v21
	v_cndmask_b32_e64 v0, 0, v0, s0
	s_delay_alu instid0(VALU_DEP_2) | instskip(SKIP_1) | instid1(VALU_DEP_2)
	v_bitop3_b32 v1, v1, v4, 0x80000000 bitop3:0x78
	v_and_b32_e32 v4, 1, v88
	v_cndmask_b32_e64 v1, 0x7ff80000, v1, s0
	s_delay_alu instid0(VALU_DEP_2) | instskip(SKIP_1) | instid1(VALU_DEP_3)
	v_cmp_eq_u32_e32 vcc_lo, 0, v4
	v_lshlrev_b32_e32 v4, 30, v88
	v_mul_f64_e32 v[0:1], s[8:9], v[0:1]
	s_delay_alu instid0(VALU_DEP_1) | instskip(SKIP_2) | instid1(VALU_DEP_2)
	v_fma_f64 v[36:37], v[18:19], v[0:1], v[28:29]
	v_mul_f64_e32 v[0:1], v[54:55], v[54:55]
	v_fmac_f64_e32 v[28:29], -2.0, v[110:111]
	v_mul_f64_e32 v[14:15], 0.5, v[0:1]
	v_fmamk_f64 v[20:21], v[0:1], 0xbda907db46cc5e42, v[64:65]
	s_delay_alu instid0(VALU_DEP_1) | instskip(NEXT) | instid1(VALU_DEP_1)
	v_fmaak_f64 v[20:21], v[0:1], v[20:21], 0xbe927e4fa17f65f6
	v_fmaak_f64 v[20:21], v[0:1], v[20:21], 0x3efa01a019f4ec90
	s_delay_alu instid0(VALU_DEP_1) | instskip(NEXT) | instid1(VALU_DEP_1)
	v_fmaak_f64 v[20:21], v[0:1], v[20:21], 0xbf56c16c16c16967
	v_fmaak_f64 v[20:21], v[0:1], v[20:21], 0x3fa5555555555555
	v_add_f64_e64 v[16:17], -v[14:15], 1.0
	s_delay_alu instid0(VALU_DEP_1) | instskip(NEXT) | instid1(VALU_DEP_1)
	v_add_f64_e64 v[18:19], -v[16:17], 1.0
	v_add_f64_e64 v[14:15], v[18:19], -v[14:15]
	v_mul_f64_e32 v[18:19], v[0:1], v[0:1]
	s_delay_alu instid0(VALU_DEP_2) | instskip(NEXT) | instid1(VALU_DEP_1)
	v_fma_f64 v[14:15], v[54:55], -v[56:57], v[14:15]
	v_fmac_f64_e32 v[14:15], v[18:19], v[20:21]
	v_mul_f64_e64 v[18:19], v[54:55], -v[0:1]
	v_mul_f64_e32 v[20:21], 0.5, v[56:57]
	s_delay_alu instid0(VALU_DEP_3) | instskip(SKIP_1) | instid1(VALU_DEP_1)
	v_add_f64_e32 v[14:15], v[16:17], v[14:15]
	v_fmamk_f64 v[16:17], v[0:1], 0x3de5e0b2f9a43bb8, v[126:127]
	v_fmaak_f64 v[16:17], v[0:1], v[16:17], 0x3ec71de3796cde01
	s_delay_alu instid0(VALU_DEP_1) | instskip(NEXT) | instid1(VALU_DEP_1)
	v_fmaak_f64 v[16:17], v[0:1], v[16:17], 0xbf2a01a019e83e5c
	v_fmaak_f64 v[16:17], v[0:1], v[16:17], 0x3f81111111110bb3
	s_delay_alu instid0(VALU_DEP_1) | instskip(NEXT) | instid1(VALU_DEP_1)
	v_fmac_f64_e32 v[20:21], v[18:19], v[16:17]
	v_fma_f64 v[0:1], v[0:1], v[20:21], -v[56:57]
	s_delay_alu instid0(VALU_DEP_1) | instskip(NEXT) | instid1(VALU_DEP_1)
	v_fmac_f64_e32 v[0:1], 0xbfc5555555555555, v[18:19]
	v_add_f64_e64 v[0:1], v[54:55], -v[0:1]
	v_mov_b64_e32 v[54:55], 0x3e928af3fca7ab0c
	s_delay_alu instid0(VALU_DEP_2) | instskip(NEXT) | instid1(VALU_DEP_1)
	v_xor_b32_e32 v1, 0x80000000, v1
	v_dual_cndmask_b32 v0, v0, v14 :: v_dual_cndmask_b32 v1, v1, v15
	s_delay_alu instid0(VALU_DEP_1) | instskip(NEXT) | instid1(VALU_DEP_2)
	v_cndmask_b32_e64 v0, 0, v0, s0
	v_bitop3_b32 v1, v1, v4, 0x80000000 bitop3:0x78
	v_and_b32_e32 v4, 1, v83
	s_delay_alu instid0(VALU_DEP_2) | instskip(NEXT) | instid1(VALU_DEP_1)
	v_cndmask_b32_e64 v1, 0x7ff80000, v1, s0
	v_mul_f64_e32 v[0:1], v[52:53], v[0:1]
	s_delay_alu instid0(VALU_DEP_1) | instskip(NEXT) | instid1(VALU_DEP_1)
	v_fmac_f64_e32 v[0:1], v[6:7], v[38:39]
	v_div_scale_f64 v[6:7], null, v[36:37], v[36:37], -v[0:1]
	s_delay_alu instid0(VALU_DEP_1) | instskip(SKIP_1) | instid1(TRANS32_DEP_1)
	v_rcp_f64_e32 v[14:15], v[6:7]
	v_nop
	v_fma_f64 v[16:17], -v[6:7], v[14:15], 1.0
	s_delay_alu instid0(VALU_DEP_1) | instskip(NEXT) | instid1(VALU_DEP_1)
	v_fmac_f64_e32 v[14:15], v[14:15], v[16:17]
	v_fma_f64 v[16:17], -v[6:7], v[14:15], 1.0
	s_delay_alu instid0(VALU_DEP_1) | instskip(SKIP_1) | instid1(VALU_DEP_1)
	v_fmac_f64_e32 v[14:15], v[14:15], v[16:17]
	v_div_scale_f64 v[16:17], vcc_lo, -v[0:1], v[36:37], -v[0:1]
	v_mul_f64_e32 v[18:19], v[16:17], v[14:15]
	s_delay_alu instid0(VALU_DEP_1) | instskip(NEXT) | instid1(VALU_DEP_1)
	v_fma_f64 v[6:7], -v[6:7], v[18:19], v[16:17]
	v_div_fmas_f64 v[6:7], v[6:7], v[14:15], v[18:19]
	v_cmp_eq_u32_e32 vcc_lo, 0, v4
	v_lshlrev_b32_e32 v4, 30, v83
	s_delay_alu instid0(VALU_DEP_1) | instskip(NEXT) | instid1(VALU_DEP_4)
	v_and_b32_e32 v4, 0x80000000, v4
	v_div_fixup_f64 v[38:39], v[6:7], v[36:37], -v[0:1]
	v_mul_f64_e32 v[0:1], v[22:23], v[22:23]
	v_mul_f64_e32 v[6:7], v[2:3], v[2:3]
	s_delay_alu instid0(VALU_DEP_2) | instskip(SKIP_1) | instid1(VALU_DEP_1)
	v_mul_f64_e32 v[14:15], 0.5, v[0:1]
	v_fmamk_f64 v[20:21], v[0:1], 0xbda907db46cc5e42, v[64:65]
	v_fmaak_f64 v[20:21], v[0:1], v[20:21], 0xbe927e4fa17f65f6
	s_delay_alu instid0(VALU_DEP_1) | instskip(NEXT) | instid1(VALU_DEP_1)
	v_fmaak_f64 v[20:21], v[0:1], v[20:21], 0x3efa01a019f4ec90
	v_fmaak_f64 v[20:21], v[0:1], v[20:21], 0xbf56c16c16c16967
	s_delay_alu instid0(VALU_DEP_1) | instskip(SKIP_1) | instid1(VALU_DEP_1)
	v_fmaak_f64 v[20:21], v[0:1], v[20:21], 0x3fa5555555555555
	v_add_f64_e64 v[16:17], -v[14:15], 1.0
	v_add_f64_e64 v[18:19], -v[16:17], 1.0
	s_delay_alu instid0(VALU_DEP_1) | instskip(SKIP_1) | instid1(VALU_DEP_2)
	v_add_f64_e64 v[14:15], v[18:19], -v[14:15]
	v_mul_f64_e32 v[18:19], v[0:1], v[0:1]
	v_fma_f64 v[14:15], v[22:23], -v[40:41], v[14:15]
	s_delay_alu instid0(VALU_DEP_1) | instskip(SKIP_2) | instid1(VALU_DEP_3)
	v_fmac_f64_e32 v[14:15], v[18:19], v[20:21]
	v_mul_f64_e64 v[18:19], v[22:23], -v[0:1]
	v_mul_f64_e32 v[20:21], 0.5, v[40:41]
	v_add_f64_e32 v[14:15], v[16:17], v[14:15]
	v_fmamk_f64 v[16:17], v[0:1], 0x3de5e0b2f9a43bb8, v[126:127]
	s_delay_alu instid0(VALU_DEP_1) | instskip(NEXT) | instid1(VALU_DEP_1)
	v_fmaak_f64 v[16:17], v[0:1], v[16:17], 0x3ec71de3796cde01
	v_fmaak_f64 v[16:17], v[0:1], v[16:17], 0xbf2a01a019e83e5c
	s_delay_alu instid0(VALU_DEP_1) | instskip(NEXT) | instid1(VALU_DEP_1)
	v_fmaak_f64 v[16:17], v[0:1], v[16:17], 0x3f81111111110bb3
	v_fmac_f64_e32 v[20:21], v[18:19], v[16:17]
	s_delay_alu instid0(VALU_DEP_1) | instskip(NEXT) | instid1(VALU_DEP_1)
	v_fma_f64 v[0:1], v[0:1], v[20:21], -v[40:41]
	v_fmac_f64_e32 v[0:1], 0xbfc5555555555555, v[18:19]
	s_delay_alu instid0(VALU_DEP_1) | instskip(NEXT) | instid1(VALU_DEP_1)
	v_add_f64_e64 v[0:1], v[22:23], -v[0:1]
	v_xor_b32_e32 v1, 0x80000000, v1
	s_delay_alu instid0(VALU_DEP_1) | instskip(NEXT) | instid1(VALU_DEP_1)
	v_dual_cndmask_b32 v0, v0, v14 :: v_dual_cndmask_b32 v1, v1, v15
	v_cndmask_b32_e64 v0, 0, v0, s2
	v_cmp_eq_u32_e32 vcc_lo, 0, v5
	s_delay_alu instid0(VALU_DEP_3) | instskip(NEXT) | instid1(VALU_DEP_1)
	v_xor_b32_e32 v1, v1, v4
	v_cndmask_b32_e64 v1, 0x7ff80000, v1, s2
	s_delay_alu instid0(VALU_DEP_1) | instskip(SKIP_1) | instid1(VALU_DEP_1)
	v_mul_f64_e32 v[0:1], v[6:7], v[0:1]
	v_mul_f64_e32 v[6:7], v[42:43], v[42:43]
	v_mul_f64_e32 v[14:15], 0.5, v[6:7]
	v_fmamk_f64 v[20:21], v[6:7], 0xbda907db46cc5e42, v[64:65]
	s_delay_alu instid0(VALU_DEP_1) | instskip(NEXT) | instid1(VALU_DEP_1)
	v_fmaak_f64 v[20:21], v[6:7], v[20:21], 0xbe927e4fa17f65f6
	v_fmaak_f64 v[20:21], v[6:7], v[20:21], 0x3efa01a019f4ec90
	s_delay_alu instid0(VALU_DEP_1) | instskip(NEXT) | instid1(VALU_DEP_1)
	v_fmaak_f64 v[20:21], v[6:7], v[20:21], 0xbf56c16c16c16967
	v_fmaak_f64 v[20:21], v[6:7], v[20:21], 0x3fa5555555555555
	v_add_f64_e64 v[16:17], -v[14:15], 1.0
	s_delay_alu instid0(VALU_DEP_1) | instskip(NEXT) | instid1(VALU_DEP_1)
	v_add_f64_e64 v[18:19], -v[16:17], 1.0
	v_add_f64_e64 v[14:15], v[18:19], -v[14:15]
	v_mul_f64_e32 v[18:19], v[6:7], v[6:7]
	s_delay_alu instid0(VALU_DEP_2) | instskip(NEXT) | instid1(VALU_DEP_1)
	v_fma_f64 v[14:15], v[42:43], -v[44:45], v[14:15]
	v_fmac_f64_e32 v[14:15], v[18:19], v[20:21]
	v_mul_f64_e64 v[18:19], v[42:43], -v[6:7]
	v_mul_f64_e32 v[20:21], 0.5, v[44:45]
	s_delay_alu instid0(VALU_DEP_3) | instskip(SKIP_1) | instid1(VALU_DEP_1)
	v_add_f64_e32 v[14:15], v[16:17], v[14:15]
	v_fmamk_f64 v[16:17], v[6:7], 0x3de5e0b2f9a43bb8, v[126:127]
	v_fmaak_f64 v[16:17], v[6:7], v[16:17], 0x3ec71de3796cde01
	s_delay_alu instid0(VALU_DEP_1) | instskip(NEXT) | instid1(VALU_DEP_1)
	v_fmaak_f64 v[16:17], v[6:7], v[16:17], 0xbf2a01a019e83e5c
	v_fmaak_f64 v[16:17], v[6:7], v[16:17], 0x3f81111111110bb3
	s_delay_alu instid0(VALU_DEP_1) | instskip(NEXT) | instid1(VALU_DEP_1)
	v_fmac_f64_e32 v[20:21], v[18:19], v[16:17]
	v_fma_f64 v[6:7], v[6:7], v[20:21], -v[44:45]
	s_delay_alu instid0(VALU_DEP_1) | instskip(NEXT) | instid1(VALU_DEP_1)
	v_fmac_f64_e32 v[6:7], 0xbfc5555555555555, v[18:19]
	v_add_f64_e64 v[6:7], v[42:43], -v[6:7]
	s_delay_alu instid0(VALU_DEP_1) | instskip(NEXT) | instid1(VALU_DEP_2)
	v_xor_b32_e32 v4, 0x80000000, v7
	v_dual_cndmask_b32 v5, v6, v14 :: v_dual_lshlrev_b32 v6, 30, v84
	s_delay_alu instid0(VALU_DEP_2) | instskip(NEXT) | instid1(VALU_DEP_1)
	v_cndmask_b32_e32 v4, v4, v15, vcc_lo
	v_bitop3_b32 v4, v4, v6, 0x80000000 bitop3:0x78
	s_delay_alu instid0(VALU_DEP_3) | instskip(NEXT) | instid1(VALU_DEP_2)
	v_cndmask_b32_e64 v6, 0, v5, s0
	v_cndmask_b32_e64 v7, 0x7ff80000, v4, s0
	s_delay_alu instid0(VALU_DEP_1) | instskip(SKIP_1) | instid1(VALU_DEP_2)
	v_dual_mul_f64 v[6:7], v[0:1], v[6:7] :: v_dual_bitop2_b32 v4, 1, v85 bitop3:0x40
	v_mul_f64_e32 v[0:1], v[110:111], v[2:3]
	v_cmp_eq_u32_e32 vcc_lo, 0, v4
	v_lshlrev_b32_e32 v4, 30, v85
	s_delay_alu instid0(VALU_DEP_1) | instskip(NEXT) | instid1(VALU_DEP_4)
	v_xor_b32_e32 v4, v4, v11
	v_mul_f64_e32 v[2:3], v[0:1], v[50:51]
	v_mul_f64_e32 v[0:1], v[46:47], v[46:47]
	s_delay_alu instid0(VALU_DEP_1) | instskip(SKIP_1) | instid1(VALU_DEP_1)
	v_mul_f64_e32 v[14:15], 0.5, v[0:1]
	v_fmamk_f64 v[20:21], v[0:1], 0xbda907db46cc5e42, v[64:65]
	v_fmaak_f64 v[20:21], v[0:1], v[20:21], 0xbe927e4fa17f65f6
	s_delay_alu instid0(VALU_DEP_1) | instskip(NEXT) | instid1(VALU_DEP_1)
	v_fmaak_f64 v[20:21], v[0:1], v[20:21], 0x3efa01a019f4ec90
	v_fmaak_f64 v[20:21], v[0:1], v[20:21], 0xbf56c16c16c16967
	s_delay_alu instid0(VALU_DEP_1) | instskip(SKIP_1) | instid1(VALU_DEP_1)
	v_fmaak_f64 v[20:21], v[0:1], v[20:21], 0x3fa5555555555555
	v_add_f64_e64 v[16:17], -v[14:15], 1.0
	v_add_f64_e64 v[18:19], -v[16:17], 1.0
	s_delay_alu instid0(VALU_DEP_1) | instskip(SKIP_1) | instid1(VALU_DEP_2)
	v_add_f64_e64 v[14:15], v[18:19], -v[14:15]
	v_mul_f64_e32 v[18:19], v[0:1], v[0:1]
	v_fma_f64 v[14:15], v[46:47], -v[48:49], v[14:15]
	s_delay_alu instid0(VALU_DEP_1) | instskip(SKIP_2) | instid1(VALU_DEP_3)
	v_fmac_f64_e32 v[14:15], v[18:19], v[20:21]
	v_mul_f64_e64 v[18:19], v[46:47], -v[0:1]
	v_mul_f64_e32 v[20:21], 0.5, v[48:49]
	v_add_f64_e32 v[14:15], v[16:17], v[14:15]
	v_fmamk_f64 v[16:17], v[0:1], 0x3de5e0b2f9a43bb8, v[126:127]
	s_delay_alu instid0(VALU_DEP_1) | instskip(NEXT) | instid1(VALU_DEP_1)
	v_fmaak_f64 v[16:17], v[0:1], v[16:17], 0x3ec71de3796cde01
	v_fmaak_f64 v[16:17], v[0:1], v[16:17], 0xbf2a01a019e83e5c
	s_delay_alu instid0(VALU_DEP_1) | instskip(NEXT) | instid1(VALU_DEP_1)
	v_fmaak_f64 v[16:17], v[0:1], v[16:17], 0x3f81111111110bb3
	v_fmac_f64_e32 v[20:21], v[18:19], v[16:17]
	s_delay_alu instid0(VALU_DEP_1) | instskip(NEXT) | instid1(VALU_DEP_1)
	v_fma_f64 v[0:1], v[0:1], v[20:21], -v[48:49]
	v_fmac_f64_e32 v[0:1], 0xbfc5555555555555, v[18:19]
	s_delay_alu instid0(VALU_DEP_1) | instskip(NEXT) | instid1(VALU_DEP_1)
	v_add_f64_e64 v[0:1], v[46:47], -v[0:1]
	v_dual_cndmask_b32 v1, v15, v1 :: v_dual_cndmask_b32 v0, v14, v0
	s_delay_alu instid0(VALU_DEP_1) | instskip(NEXT) | instid1(VALU_DEP_2)
	v_bitop3_b32 v1, v1, v4, 0x80000000 bitop3:0x78
	v_cndmask_b32_e64 v0, 0, v0, s0
	s_delay_alu instid0(VALU_DEP_2) | instskip(NEXT) | instid1(VALU_DEP_1)
	v_cndmask_b32_e64 v1, 0x7ff80000, v1, s0
	v_fma_f64 v[0:1], v[2:3], v[0:1], -v[6:7]
	s_delay_alu instid0(VALU_DEP_1) | instskip(NEXT) | instid1(VALU_DEP_1)
	v_div_scale_f64 v[2:3], null, v[36:37], v[36:37], -v[0:1]
	v_rcp_f64_e32 v[6:7], v[2:3]
	v_nop
	s_delay_alu instid0(TRANS32_DEP_1) | instskip(NEXT) | instid1(VALU_DEP_1)
	v_fma_f64 v[14:15], -v[2:3], v[6:7], 1.0
	v_fmac_f64_e32 v[6:7], v[6:7], v[14:15]
	s_delay_alu instid0(VALU_DEP_1) | instskip(NEXT) | instid1(VALU_DEP_1)
	v_fma_f64 v[14:15], -v[2:3], v[6:7], 1.0
	v_fmac_f64_e32 v[6:7], v[6:7], v[14:15]
	v_div_scale_f64 v[14:15], vcc_lo, -v[0:1], v[36:37], -v[0:1]
	s_delay_alu instid0(VALU_DEP_1) | instskip(NEXT) | instid1(VALU_DEP_1)
	v_mul_f64_e32 v[16:17], v[14:15], v[6:7]
	v_fma_f64 v[2:3], -v[2:3], v[16:17], v[14:15]
	s_delay_alu instid0(VALU_DEP_1) | instskip(NEXT) | instid1(VALU_DEP_1)
	v_div_fmas_f64 v[2:3], v[2:3], v[6:7], v[16:17]
	v_div_fixup_f64 v[40:41], v[2:3], v[36:37], -v[0:1]
	v_add_f64_e64 v[2:3], -v[8:9], 1.0
	s_delay_alu instid0(VALU_DEP_1) | instskip(SKIP_2) | instid1(SALU_CYCLE_1)
	v_cmp_gt_f64_e32 vcc_lo, 0x10000000, v[2:3]
	s_and_b32 s1, vcc_lo, exec_lo
	s_cselect_b32 s1, 0x100, 0
	v_ldexp_f64 v[0:1], v[2:3], s1
	s_cselect_b32 s1, 0xffffff80, 0
	s_delay_alu instid0(VALU_DEP_1) | instskip(SKIP_1) | instid1(TRANS32_DEP_1)
	v_rsq_f64_e32 v[6:7], v[0:1]
	v_cmp_class_f64_e64 vcc_lo, v[0:1], 0x260
	v_mul_f64_e32 v[14:15], v[0:1], v[6:7]
	v_mul_f64_e32 v[6:7], 0.5, v[6:7]
	s_delay_alu instid0(VALU_DEP_1) | instskip(NEXT) | instid1(VALU_DEP_1)
	v_fma_f64 v[16:17], -v[6:7], v[14:15], 0.5
	v_fmac_f64_e32 v[14:15], v[14:15], v[16:17]
	v_fmac_f64_e32 v[6:7], v[6:7], v[16:17]
	s_delay_alu instid0(VALU_DEP_2) | instskip(NEXT) | instid1(VALU_DEP_1)
	v_fma_f64 v[18:19], -v[14:15], v[14:15], v[0:1]
	v_fmac_f64_e32 v[14:15], v[18:19], v[6:7]
	s_delay_alu instid0(VALU_DEP_1) | instskip(NEXT) | instid1(VALU_DEP_1)
	v_fma_f64 v[16:17], -v[14:15], v[14:15], v[0:1]
	v_fmac_f64_e32 v[14:15], v[16:17], v[6:7]
	s_delay_alu instid0(VALU_DEP_1) | instskip(NEXT) | instid1(VALU_DEP_1)
	v_ldexp_f64 v[6:7], v[14:15], s1
	v_dual_cndmask_b32 v1, v7, v1 :: v_dual_cndmask_b32 v0, v6, v0
	v_cmp_eq_f64_e32 vcc_lo, 1.0, v[2:3]
	v_frexp_mant_f64_e64 v[6:7], |v[2:3]|
	s_delay_alu instid0(VALU_DEP_3) | instskip(SKIP_1) | instid1(VALU_DEP_2)
	v_add_f64_e32 v[0:1], 1.0, v[0:1]
	s_and_b32 s1, vcc_lo, exec_lo
	v_cmp_gt_f64_e32 vcc_lo, s[4:5], v[6:7]
	s_cselect_b32 s3, s12, 0x3fd55555
	s_cselect_b32 s2, 0, 0x55555555
	s_delay_alu instid0(VALU_DEP_2) | instskip(SKIP_4) | instid1(VALU_DEP_2)
	v_add_f64_e32 v[0:1], 0x3ee4f8b588e368f1, v[0:1]
	scratch_store_b64 off, v[0:1], off offset:152 ; 8-byte Folded Spill
	s_wait_xcnt 0x0
	v_cndmask_b32_e64 v1, 0, 1, vcc_lo
	v_frexp_exp_i32_f64_e32 v0, v[2:3]
	v_ldexp_f64 v[6:7], v[6:7], v1
	s_delay_alu instid0(VALU_DEP_2) | instskip(NEXT) | instid1(VALU_DEP_2)
	v_subrev_co_ci_u32_e64 v4, null, 0, v0, vcc_lo
	v_add_f64_e32 v[14:15], 1.0, v[6:7]
	v_add_f64_e32 v[0:1], -1.0, v[6:7]
	s_delay_alu instid0(VALU_DEP_2) | instskip(NEXT) | instid1(VALU_DEP_1)
	v_add_f64_e32 v[16:17], -1.0, v[14:15]
	v_add_f64_e64 v[6:7], v[6:7], -v[16:17]
	v_rcp_f64_e32 v[16:17], v[14:15]
	v_nop
	s_delay_alu instid0(TRANS32_DEP_1) | instskip(NEXT) | instid1(VALU_DEP_1)
	v_fma_f64 v[18:19], -v[14:15], v[16:17], 1.0
	v_fmac_f64_e32 v[16:17], v[18:19], v[16:17]
	s_delay_alu instid0(VALU_DEP_1) | instskip(NEXT) | instid1(VALU_DEP_1)
	v_fma_f64 v[18:19], -v[14:15], v[16:17], 1.0
	v_fmac_f64_e32 v[16:17], v[18:19], v[16:17]
	s_delay_alu instid0(VALU_DEP_1) | instskip(NEXT) | instid1(VALU_DEP_1)
	v_mul_f64_e32 v[18:19], v[0:1], v[16:17]
	v_mul_f64_e32 v[20:21], v[14:15], v[18:19]
	s_delay_alu instid0(VALU_DEP_1) | instskip(NEXT) | instid1(VALU_DEP_1)
	v_fma_f64 v[14:15], v[18:19], v[14:15], -v[20:21]
	v_fmac_f64_e32 v[14:15], v[18:19], v[6:7]
	s_delay_alu instid0(VALU_DEP_1) | instskip(NEXT) | instid1(VALU_DEP_1)
	v_add_f64_e32 v[6:7], v[20:21], v[14:15]
	v_add_f64_e64 v[22:23], v[0:1], -v[6:7]
	v_add_f64_e64 v[20:21], v[6:7], -v[20:21]
	s_delay_alu instid0(VALU_DEP_2) | instskip(NEXT) | instid1(VALU_DEP_1)
	v_add_f64_e64 v[0:1], v[0:1], -v[22:23]
	v_add_f64_e64 v[0:1], v[0:1], -v[6:7]
	s_delay_alu instid0(VALU_DEP_3) | instskip(NEXT) | instid1(VALU_DEP_1)
	v_add_f64_e64 v[6:7], v[20:21], -v[14:15]
	v_add_f64_e32 v[0:1], v[6:7], v[0:1]
	s_delay_alu instid0(VALU_DEP_1) | instskip(NEXT) | instid1(VALU_DEP_1)
	v_add_f64_e32 v[0:1], v[22:23], v[0:1]
	v_mul_f64_e32 v[0:1], v[16:17], v[0:1]
	s_delay_alu instid0(VALU_DEP_1) | instskip(NEXT) | instid1(VALU_DEP_1)
	v_add_f64_e32 v[42:43], v[18:19], v[0:1]
	v_add_f64_e64 v[6:7], v[42:43], -v[18:19]
	s_delay_alu instid0(VALU_DEP_1) | instskip(SKIP_1) | instid1(VALU_DEP_2)
	v_add_f64_e64 v[0:1], v[0:1], -v[6:7]
	v_mul_f64_e32 v[6:7], v[42:43], v[42:43]
	v_add_f64_e32 v[16:17], v[0:1], v[0:1]
	s_delay_alu instid0(VALU_DEP_2) | instskip(NEXT) | instid1(VALU_DEP_1)
	v_fma_f64 v[14:15], v[42:43], v[42:43], -v[6:7]
	v_fmac_f64_e32 v[14:15], v[42:43], v[16:17]
	s_delay_alu instid0(VALU_DEP_1) | instskip(NEXT) | instid1(VALU_DEP_1)
	v_add_f64_e32 v[16:17], v[6:7], v[14:15]
	v_add_f64_e64 v[6:7], v[16:17], -v[6:7]
	v_mul_f64_e32 v[46:47], v[42:43], v[16:17]
	s_delay_alu instid0(VALU_DEP_2) | instskip(SKIP_1) | instid1(VALU_DEP_3)
	v_add_f64_e64 v[18:19], v[14:15], -v[6:7]
	v_fmamk_f64 v[6:7], v[16:17], 0x3fbdee674222de17, v[12:13]
	v_fma_f64 v[48:49], v[16:17], v[42:43], -v[46:47]
                                        ; implicit-def: $vgpr14_vgpr15
                                        ; implicit-def: $vgpr14_vgpr15
	;; [unrolled: 1-line block ×7, first 2 shown]
	s_delay_alu instid0(VALU_DEP_2) | instskip(NEXT) | instid1(VALU_DEP_1)
	v_fmaak_f64 v[6:7], v[16:17], v[6:7], 0x3fbe25e43abe935a
	v_fmaak_f64 v[6:7], v[16:17], v[6:7], 0x3fc110ef47e6c9c2
	s_delay_alu instid0(VALU_DEP_1) | instskip(NEXT) | instid1(VALU_DEP_1)
	v_fmaak_f64 v[6:7], v[16:17], v[6:7], 0x3fc3b13bcfa74449
	v_fmaak_f64 v[6:7], v[16:17], v[6:7], 0x3fc745d171bf3c30
	v_fmac_f64_e32 v[48:49], v[16:17], v[0:1]
	s_delay_alu instid0(VALU_DEP_2) | instskip(NEXT) | instid1(VALU_DEP_1)
	v_fmaak_f64 v[6:7], v[16:17], v[6:7], 0x3fcc71c71c7792ce
	v_fmaak_f64 v[6:7], v[16:17], v[6:7], 0x3fd24924924920da
	s_delay_alu instid0(VALU_DEP_1) | instskip(SKIP_2) | instid1(VALU_DEP_2)
	v_fmaak_f64 v[44:45], v[16:17], v[6:7], 0x3fd999999999999c
	v_cvt_f64_i32_e32 v[6:7], v4
	v_fmac_f64_e32 v[48:49], v[18:19], v[42:43]
	v_mul_f64_e32 v[20:21], 0x3fe62e42fefa39ef, v[6:7]
	s_delay_alu instid0(VALU_DEP_1) | instskip(NEXT) | instid1(VALU_DEP_1)
	v_fma_f64 v[22:23], v[6:7], s[6:7], -v[20:21]
	v_fmac_f64_e32 v[22:23], 0x3c7abc9e3b39803f, v[6:7]
	s_delay_alu instid0(VALU_DEP_1) | instskip(NEXT) | instid1(VALU_DEP_1)
	v_add_f64_e32 v[14:15], v[20:21], v[22:23]
	v_add_f64_e64 v[6:7], v[14:15], -v[20:21]
	v_ldexp_f64 v[20:21], v[0:1], 1
	v_add_f64_e32 v[0:1], v[46:47], v[48:49]
	s_delay_alu instid0(VALU_DEP_3) | instskip(SKIP_1) | instid1(VALU_DEP_3)
	v_add_f64_e64 v[6:7], v[22:23], -v[6:7]
	v_ldexp_f64 v[22:23], v[42:43], 1
	v_add_f64_e64 v[42:43], v[0:1], -v[46:47]
	v_mul_f64_e32 v[46:47], v[16:17], v[44:45]
	s_delay_alu instid0(VALU_DEP_2) | instskip(NEXT) | instid1(VALU_DEP_2)
	v_add_f64_e64 v[42:43], v[48:49], -v[42:43]
	v_fma_f64 v[16:17], v[16:17], v[44:45], -v[46:47]
	s_delay_alu instid0(VALU_DEP_1) | instskip(NEXT) | instid1(VALU_DEP_1)
	v_fmac_f64_e32 v[16:17], v[18:19], v[44:45]
	v_add_f64_e32 v[18:19], v[46:47], v[16:17]
	s_delay_alu instid0(VALU_DEP_1) | instskip(NEXT) | instid1(VALU_DEP_1)
	v_add_f64_e64 v[44:45], v[18:19], -v[46:47]
	v_add_f64_e64 v[16:17], v[16:17], -v[44:45]
	v_add_f64_e32 v[44:45], 0x3fe5555555555555, v[18:19]
	s_delay_alu instid0(VALU_DEP_2) | instskip(NEXT) | instid1(VALU_DEP_2)
	v_add_f64_e32 v[16:17], 0x3c8543b0d5df274d, v[16:17]
	v_add_f64_e32 v[46:47], 0xbfe5555555555555, v[44:45]
	s_delay_alu instid0(VALU_DEP_1) | instskip(NEXT) | instid1(VALU_DEP_1)
	v_add_f64_e64 v[18:19], v[18:19], -v[46:47]
	v_add_f64_e32 v[16:17], v[16:17], v[18:19]
	s_delay_alu instid0(VALU_DEP_1) | instskip(NEXT) | instid1(VALU_DEP_1)
	v_add_f64_e32 v[18:19], v[44:45], v[16:17]
	v_add_f64_e64 v[44:45], v[44:45], -v[18:19]
	s_delay_alu instid0(VALU_DEP_1) | instskip(SKIP_1) | instid1(VALU_DEP_1)
	v_add_f64_e32 v[16:17], v[16:17], v[44:45]
	v_mul_f64_e32 v[44:45], v[0:1], v[18:19]
	v_fma_f64 v[46:47], v[0:1], v[18:19], -v[44:45]
	s_delay_alu instid0(VALU_DEP_1) | instskip(NEXT) | instid1(VALU_DEP_1)
	v_fmac_f64_e32 v[46:47], v[0:1], v[16:17]
	v_fmac_f64_e32 v[46:47], v[42:43], v[18:19]
	s_delay_alu instid0(VALU_DEP_1) | instskip(NEXT) | instid1(VALU_DEP_1)
	v_add_f64_e32 v[0:1], v[44:45], v[46:47]
	v_add_f64_e64 v[16:17], v[0:1], -v[44:45]
	v_add_f64_e32 v[18:19], v[22:23], v[0:1]
	s_delay_alu instid0(VALU_DEP_2) | instskip(NEXT) | instid1(VALU_DEP_2)
	v_add_f64_e64 v[16:17], v[46:47], -v[16:17]
	v_add_f64_e64 v[22:23], v[18:19], -v[22:23]
	s_delay_alu instid0(VALU_DEP_2) | instskip(NEXT) | instid1(VALU_DEP_2)
	v_add_f64_e32 v[16:17], v[20:21], v[16:17]
	v_add_f64_e64 v[0:1], v[0:1], -v[22:23]
	s_delay_alu instid0(VALU_DEP_1) | instskip(NEXT) | instid1(VALU_DEP_1)
	v_add_f64_e32 v[0:1], v[16:17], v[0:1]
	v_add_f64_e32 v[16:17], v[18:19], v[0:1]
	s_delay_alu instid0(VALU_DEP_1) | instskip(NEXT) | instid1(VALU_DEP_1)
	v_add_f64_e64 v[18:19], v[16:17], -v[18:19]
	v_add_f64_e64 v[0:1], v[0:1], -v[18:19]
	v_add_f64_e32 v[18:19], v[14:15], v[16:17]
	s_delay_alu instid0(VALU_DEP_1) | instskip(NEXT) | instid1(VALU_DEP_1)
	v_add_f64_e64 v[20:21], v[18:19], -v[14:15]
	v_add_f64_e64 v[22:23], v[18:19], -v[20:21]
	;; [unrolled: 1-line block ×3, first 2 shown]
	s_delay_alu instid0(VALU_DEP_2) | instskip(NEXT) | instid1(VALU_DEP_1)
	v_add_f64_e64 v[14:15], v[14:15], -v[22:23]
	v_add_f64_e32 v[14:15], v[16:17], v[14:15]
	v_add_f64_e32 v[16:17], v[6:7], v[0:1]
	s_delay_alu instid0(VALU_DEP_1) | instskip(NEXT) | instid1(VALU_DEP_1)
	v_add_f64_e64 v[20:21], v[16:17], -v[6:7]
	v_add_f64_e64 v[22:23], v[16:17], -v[20:21]
	v_add_f64_e64 v[0:1], v[0:1], -v[20:21]
                                        ; implicit-def: $vgpr20_vgpr21
                                        ; implicit-def: $vgpr20_vgpr21
                                        ; implicit-def: $vgpr20_vgpr21
                                        ; implicit-def: $vgpr20_vgpr21
                                        ; implicit-def: $vgpr20_vgpr21
                                        ; implicit-def: $vgpr20_vgpr21
                                        ; implicit-def: $vgpr20_vgpr21
                                        ; implicit-def: $vgpr20_vgpr21
	s_delay_alu instid0(VALU_DEP_2) | instskip(NEXT) | instid1(VALU_DEP_1)
	v_add_f64_e64 v[6:7], v[6:7], -v[22:23]
	v_add_f64_e32 v[0:1], v[0:1], v[6:7]
	v_add_f64_e32 v[6:7], v[16:17], v[14:15]
	s_delay_alu instid0(VALU_DEP_1) | instskip(NEXT) | instid1(VALU_DEP_1)
	v_add_f64_e32 v[14:15], v[18:19], v[6:7]
	v_add_f64_e64 v[16:17], v[14:15], -v[18:19]
	s_delay_alu instid0(VALU_DEP_1) | instskip(NEXT) | instid1(VALU_DEP_1)
	v_add_f64_e64 v[6:7], v[6:7], -v[16:17]
	v_add_f64_e32 v[0:1], v[0:1], v[6:7]
	s_delay_alu instid0(VALU_DEP_1) | instskip(NEXT) | instid1(VALU_DEP_1)
	v_add_f64_e32 v[6:7], v[14:15], v[0:1]
	v_add_f64_e64 v[14:15], v[6:7], -v[14:15]
	s_delay_alu instid0(VALU_DEP_1) | instskip(SKIP_1) | instid1(VALU_DEP_1)
	v_add_f64_e64 v[0:1], v[0:1], -v[14:15]
	v_mul_f64_e32 v[14:15], s[2:3], v[6:7]
	v_fma_f64 v[6:7], s[2:3], v[6:7], -v[14:15]
	v_cmp_class_f64_e64 vcc_lo, v[14:15], 0x204
	s_delay_alu instid0(VALU_DEP_2) | instskip(NEXT) | instid1(VALU_DEP_1)
	v_fmac_f64_e32 v[6:7], s[2:3], v[0:1]
	v_add_f64_e32 v[0:1], v[14:15], v[6:7]
	s_delay_alu instid0(VALU_DEP_1) | instskip(SKIP_1) | instid1(VALU_DEP_1)
	v_add_f64_e64 v[16:17], v[0:1], -v[14:15]
	v_dual_cndmask_b32 v1, v1, v15 :: v_dual_cndmask_b32 v0, v0, v14
	v_mul_f64_e32 v[14:15], 0x3ff71547652b82fe, v[0:1]
	v_cmp_neq_f64_e64 vcc_lo, 0x7ff00000, |v[0:1]|
	v_cmp_ngt_f64_e64 s1, 0xc090cc00, v[0:1]
	v_add_f64_e64 v[6:7], v[6:7], -v[16:17]
	s_delay_alu instid0(VALU_DEP_4) | instskip(NEXT) | instid1(VALU_DEP_2)
	v_rndne_f64_e32 v[14:15], v[14:15]
	v_dual_cndmask_b32 v7, 0, v7 :: v_dual_cndmask_b32 v6, 0, v6
	v_cmp_nlt_f64_e32 vcc_lo, 0x40900000, v[0:1]
	s_delay_alu instid0(VALU_DEP_3) | instskip(SKIP_1) | instid1(VALU_DEP_2)
	v_fmamk_f64 v[16:17], v[14:15], 0xbfe62e42fefa39ef, v[0:1]
	v_cvt_i32_f64_e32 v4, v[14:15]
	v_fmac_f64_e32 v[16:17], 0xbc7abc9e3b39803f, v[14:15]
	s_and_b32 s14, s1, vcc_lo
	s_delay_alu instid0(SALU_CYCLE_1) | instskip(NEXT) | instid1(VALU_DEP_1)
	s_and_b32 s14, s14, exec_lo
	v_fmamk_f64 v[18:19], v[16:17], 0x3e5ade156a5dcb37, v[54:55]
	s_delay_alu instid0(VALU_DEP_1) | instskip(NEXT) | instid1(VALU_DEP_1)
	v_fmaak_f64 v[18:19], v[16:17], v[18:19], 0x3ec71dee623fde64
	v_fmaak_f64 v[18:19], v[16:17], v[18:19], 0x3efa01997c89e6b0
	s_delay_alu instid0(VALU_DEP_1) | instskip(NEXT) | instid1(VALU_DEP_1)
	v_fmaak_f64 v[18:19], v[16:17], v[18:19], 0x3f2a01a014761f6e
	v_fmaak_f64 v[18:19], v[16:17], v[18:19], 0x3f56c16c1852b7b0
	;; [unrolled: 3-line block ×4, first 2 shown]
	s_delay_alu instid0(VALU_DEP_1) | instskip(NEXT) | instid1(VALU_DEP_1)
	v_fma_f64 v[18:19], v[16:17], v[18:19], 1.0
	v_fma_f64 v[16:17], v[16:17], v[18:19], 1.0
	s_delay_alu instid0(VALU_DEP_1) | instskip(NEXT) | instid1(VALU_DEP_1)
	v_ldexp_f64 v[14:15], v[16:17], v4
	v_readfirstlane_b32 s13, v14
	s_delay_alu instid0(VALU_DEP_2)
	v_cndmask_b32_e32 v4, 0x7ff00000, v15, vcc_lo
	s_cselect_b32 s13, s13, 0
	s_delay_alu instid0(VALU_DEP_1) | instid1(SALU_CYCLE_1)
	v_dual_cndmask_b32 v1, 0, v4, s1 :: v_dual_mov_b32 v0, s13
	s_delay_alu instid0(VALU_DEP_1) | instskip(SKIP_1) | instid1(VALU_DEP_2)
	v_fma_f64 v[6:7], v[0:1], v[6:7], v[0:1]
	v_cmp_class_f64_e64 vcc_lo, v[0:1], 0x204
	v_readfirstlane_b32 s1, v6
	s_delay_alu instid0(VALU_DEP_3) | instskip(SKIP_3) | instid1(VALU_DEP_1)
	v_cndmask_b32_e32 v4, v7, v1, vcc_lo
	v_trunc_f64_e32 v[0:1], s[2:3]
	s_and_b32 s14, vcc_lo, exec_lo
	s_cselect_b32 s13, s13, s1
	v_cmp_eq_f64_e32 vcc_lo, s[2:3], v[0:1]
	v_mul_f64_e64 v[0:1], s[2:3], 0.5
	v_cmp_gt_f64_e64 s2, 0, v[2:3]
	s_delay_alu instid0(VALU_DEP_2) | instskip(NEXT) | instid1(VALU_DEP_1)
	v_trunc_f64_e32 v[6:7], v[0:1]
	v_cmp_neq_f64_e64 s1, v[6:7], v[0:1]
	v_add_f64_e64 v[6:7], s[8:9], 1.0
	s_and_b32 s1, vcc_lo, s1
	s_and_b32 s3, vcc_lo, exec_lo
	v_cndmask_b32_e64 v0, 0x3ff00000, v3, s1
	s_cselect_b32 s3, s13, 0
	s_and_b32 s14, s2, exec_lo
	s_cselect_b32 s3, s3, s13
	s_delay_alu instid0(VALU_DEP_1) | instskip(SKIP_1) | instid1(VALU_DEP_2)
	v_bfi_b32 v0, 0x7fffffff, v4, v0
	v_mov_b64_e32 v[4:5], 0
	v_cndmask_b32_e32 v1, 0x7ff80000, v0, vcc_lo
	v_cmp_eq_f64_e32 vcc_lo, 0, v[2:3]
	scratch_store_b64 off, v[4:5], off offset:136 ; 8-byte Folded Spill
	s_wait_xcnt 0x0
	v_frexp_exp_i32_f64_e32 v4, v[6:7]
	v_cndmask_b32_e64 v0, v0, v1, s2
	v_cmp_class_f64_e64 s2, v[2:3], 0x204
	v_cndmask_b32_e64 v1, 0, v3, s1
	s_or_b32 s2, vcc_lo, s2
	s_and_b32 s13, vcc_lo, exec_lo
	v_cmp_o_f64_e32 vcc_lo, v[2:3], v[2:3]
	s_cselect_b32 s13, 0, 0x7ff00000
	s_and_b32 s1, s2, exec_lo
	v_bfi_b32 v1, 0x7fffffff, s13, v1
	s_cselect_b32 s1, 0, s3
	s_delay_alu instid0(VALU_DEP_1) | instskip(SKIP_1) | instid1(VALU_DEP_1)
	v_cndmask_b32_e64 v0, v0, v1, s2
	s_and_b32 s2, vcc_lo, exec_lo
	v_cndmask_b32_e32 v3, 0x7ff80000, v0, vcc_lo
	v_cmp_eq_f64_e32 vcc_lo, 1.0, v[6:7]
	v_frexp_mant_f64_e64 v[0:1], |v[6:7]|
	s_cselect_b32 s1, s1, 0
	s_delay_alu instid0(SALU_CYCLE_1) | instskip(SKIP_1) | instid1(VALU_DEP_2)
	v_mov_b32_e32 v2, s1
	s_and_b32 s1, vcc_lo, exec_lo
	v_cmp_gt_f64_e32 vcc_lo, s[4:5], v[0:1]
	s_cselect_b32 s3, s12, 0x3fd55555
	s_cselect_b32 s2, 0, 0x55555555
	v_cndmask_b32_e64 v5, 0, 1, vcc_lo
	v_subrev_co_ci_u32_e64 v4, null, 0, v4, vcc_lo
	s_delay_alu instid0(VALU_DEP_2) | instskip(NEXT) | instid1(VALU_DEP_1)
	v_ldexp_f64 v[0:1], v[0:1], v5
	v_add_f64_e32 v[16:17], 1.0, v[0:1]
	v_add_f64_e32 v[14:15], -1.0, v[0:1]
	s_delay_alu instid0(VALU_DEP_2) | instskip(NEXT) | instid1(VALU_DEP_1)
	v_add_f64_e32 v[18:19], -1.0, v[16:17]
	v_add_f64_e64 v[0:1], v[0:1], -v[18:19]
	v_rcp_f64_e32 v[18:19], v[16:17]
	v_nop
	s_delay_alu instid0(TRANS32_DEP_1) | instskip(NEXT) | instid1(VALU_DEP_1)
	v_fma_f64 v[20:21], -v[16:17], v[18:19], 1.0
	v_fmac_f64_e32 v[18:19], v[20:21], v[18:19]
	s_delay_alu instid0(VALU_DEP_1) | instskip(NEXT) | instid1(VALU_DEP_1)
	v_fma_f64 v[20:21], -v[16:17], v[18:19], 1.0
	v_fmac_f64_e32 v[18:19], v[20:21], v[18:19]
	s_delay_alu instid0(VALU_DEP_1) | instskip(NEXT) | instid1(VALU_DEP_1)
	v_mul_f64_e32 v[20:21], v[14:15], v[18:19]
	v_mul_f64_e32 v[22:23], v[16:17], v[20:21]
	s_delay_alu instid0(VALU_DEP_1) | instskip(NEXT) | instid1(VALU_DEP_1)
	v_fma_f64 v[16:17], v[20:21], v[16:17], -v[22:23]
	v_fmac_f64_e32 v[16:17], v[20:21], v[0:1]
	s_delay_alu instid0(VALU_DEP_1) | instskip(NEXT) | instid1(VALU_DEP_1)
	v_add_f64_e32 v[0:1], v[22:23], v[16:17]
	v_add_f64_e64 v[42:43], v[14:15], -v[0:1]
	v_add_f64_e64 v[22:23], v[0:1], -v[22:23]
	s_delay_alu instid0(VALU_DEP_2) | instskip(NEXT) | instid1(VALU_DEP_1)
	v_add_f64_e64 v[14:15], v[14:15], -v[42:43]
	v_add_f64_e64 v[0:1], v[14:15], -v[0:1]
	s_delay_alu instid0(VALU_DEP_3) | instskip(SKIP_1) | instid1(VALU_DEP_2)
	v_add_f64_e64 v[14:15], v[22:23], -v[16:17]
	v_cvt_f64_i32_e32 v[22:23], v4
	v_add_f64_e32 v[0:1], v[14:15], v[0:1]
	s_delay_alu instid0(VALU_DEP_1) | instskip(NEXT) | instid1(VALU_DEP_3)
	v_add_f64_e32 v[0:1], v[42:43], v[0:1]
	v_mul_f64_e32 v[42:43], 0x3fe62e42fefa39ef, v[22:23]
	s_delay_alu instid0(VALU_DEP_2) | instskip(NEXT) | instid1(VALU_DEP_2)
	v_mul_f64_e32 v[0:1], v[18:19], v[0:1]
	v_fma_f64 v[44:45], v[22:23], s[6:7], -v[42:43]
	s_delay_alu instid0(VALU_DEP_2) | instskip(NEXT) | instid1(VALU_DEP_2)
	v_add_f64_e32 v[14:15], v[20:21], v[0:1]
	v_fmac_f64_e32 v[44:45], 0x3c7abc9e3b39803f, v[22:23]
	s_delay_alu instid0(VALU_DEP_2) | instskip(NEXT) | instid1(VALU_DEP_2)
	v_add_f64_e64 v[16:17], v[14:15], -v[20:21]
	v_add_f64_e32 v[22:23], v[42:43], v[44:45]
	s_delay_alu instid0(VALU_DEP_2) | instskip(SKIP_1) | instid1(VALU_DEP_3)
	v_add_f64_e64 v[0:1], v[0:1], -v[16:17]
	v_mul_f64_e32 v[16:17], v[14:15], v[14:15]
	v_add_f64_e64 v[42:43], v[22:23], -v[42:43]
	s_delay_alu instid0(VALU_DEP_3) | instskip(NEXT) | instid1(VALU_DEP_3)
	v_add_f64_e32 v[20:21], v[0:1], v[0:1]
	v_fma_f64 v[18:19], v[14:15], v[14:15], -v[16:17]
	v_ldexp_f64 v[46:47], v[0:1], 1
	s_delay_alu instid0(VALU_DEP_4) | instskip(SKIP_1) | instid1(VALU_DEP_4)
	v_add_f64_e64 v[42:43], v[44:45], -v[42:43]
	v_ldexp_f64 v[44:45], v[14:15], 1
	v_fmac_f64_e32 v[18:19], v[14:15], v[20:21]
	s_delay_alu instid0(VALU_DEP_1) | instskip(NEXT) | instid1(VALU_DEP_1)
	v_add_f64_e32 v[20:21], v[16:17], v[18:19]
	v_mul_f64_e32 v[48:49], v[14:15], v[20:21]
	v_add_f64_e64 v[16:17], v[20:21], -v[16:17]
	s_delay_alu instid0(VALU_DEP_2) | instskip(NEXT) | instid1(VALU_DEP_2)
	v_fma_f64 v[50:51], v[20:21], v[14:15], -v[48:49]
	v_add_f64_e64 v[16:17], v[18:19], -v[16:17]
	v_fmamk_f64 v[18:19], v[20:21], 0x3fbdee674222de17, v[12:13]
	s_delay_alu instid0(VALU_DEP_1) | instskip(NEXT) | instid1(VALU_DEP_1)
	v_fmaak_f64 v[18:19], v[20:21], v[18:19], 0x3fbe25e43abe935a
	v_fmaak_f64 v[18:19], v[20:21], v[18:19], 0x3fc110ef47e6c9c2
	s_delay_alu instid0(VALU_DEP_1) | instskip(NEXT) | instid1(VALU_DEP_1)
	v_fmaak_f64 v[18:19], v[20:21], v[18:19], 0x3fc3b13bcfa74449
	v_fmaak_f64 v[18:19], v[20:21], v[18:19], 0x3fc745d171bf3c30
	v_fmac_f64_e32 v[50:51], v[20:21], v[0:1]
	s_delay_alu instid0(VALU_DEP_2) | instskip(NEXT) | instid1(VALU_DEP_1)
	v_fmaak_f64 v[18:19], v[20:21], v[18:19], 0x3fcc71c71c7792ce
	v_fmaak_f64 v[18:19], v[20:21], v[18:19], 0x3fd24924924920da
	s_delay_alu instid0(VALU_DEP_1) | instskip(NEXT) | instid1(VALU_DEP_4)
	v_fmaak_f64 v[18:19], v[20:21], v[18:19], 0x3fd999999999999c
	v_fmac_f64_e32 v[50:51], v[16:17], v[14:15]
	s_delay_alu instid0(VALU_DEP_1) | instskip(NEXT) | instid1(VALU_DEP_1)
	v_add_f64_e32 v[0:1], v[48:49], v[50:51]
	v_add_f64_e64 v[14:15], v[0:1], -v[48:49]
	s_delay_alu instid0(VALU_DEP_4) | instskip(NEXT) | instid1(VALU_DEP_2)
	v_mul_f64_e32 v[48:49], v[20:21], v[18:19]
	v_add_f64_e64 v[14:15], v[50:51], -v[14:15]
	s_delay_alu instid0(VALU_DEP_2) | instskip(NEXT) | instid1(VALU_DEP_1)
	v_fma_f64 v[20:21], v[20:21], v[18:19], -v[48:49]
	v_fmac_f64_e32 v[20:21], v[16:17], v[18:19]
	s_delay_alu instid0(VALU_DEP_1) | instskip(NEXT) | instid1(VALU_DEP_1)
	v_add_f64_e32 v[16:17], v[48:49], v[20:21]
	v_add_f64_e64 v[18:19], v[16:17], -v[48:49]
	s_delay_alu instid0(VALU_DEP_1) | instskip(SKIP_1) | instid1(VALU_DEP_2)
	v_add_f64_e64 v[18:19], v[20:21], -v[18:19]
	v_add_f64_e32 v[20:21], 0x3fe5555555555555, v[16:17]
	v_add_f64_e32 v[18:19], 0x3c8543b0d5df274d, v[18:19]
	s_delay_alu instid0(VALU_DEP_2) | instskip(NEXT) | instid1(VALU_DEP_1)
	v_add_f64_e32 v[48:49], 0xbfe5555555555555, v[20:21]
	v_add_f64_e64 v[16:17], v[16:17], -v[48:49]
	s_delay_alu instid0(VALU_DEP_1) | instskip(NEXT) | instid1(VALU_DEP_1)
	v_add_f64_e32 v[16:17], v[18:19], v[16:17]
	v_add_f64_e32 v[18:19], v[20:21], v[16:17]
	s_delay_alu instid0(VALU_DEP_1) | instskip(NEXT) | instid1(VALU_DEP_1)
	v_add_f64_e64 v[20:21], v[20:21], -v[18:19]
	v_add_f64_e32 v[16:17], v[16:17], v[20:21]
	v_mul_f64_e32 v[20:21], v[0:1], v[18:19]
	s_delay_alu instid0(VALU_DEP_1) | instskip(NEXT) | instid1(VALU_DEP_1)
	v_fma_f64 v[48:49], v[0:1], v[18:19], -v[20:21]
	v_fmac_f64_e32 v[48:49], v[0:1], v[16:17]
	s_delay_alu instid0(VALU_DEP_1) | instskip(NEXT) | instid1(VALU_DEP_1)
	v_fmac_f64_e32 v[48:49], v[14:15], v[18:19]
	v_add_f64_e32 v[0:1], v[20:21], v[48:49]
	s_delay_alu instid0(VALU_DEP_1) | instskip(SKIP_1) | instid1(VALU_DEP_2)
	v_add_f64_e64 v[14:15], v[0:1], -v[20:21]
	v_add_f64_e32 v[16:17], v[44:45], v[0:1]
	v_add_f64_e64 v[14:15], v[48:49], -v[14:15]
	s_delay_alu instid0(VALU_DEP_2) | instskip(NEXT) | instid1(VALU_DEP_2)
	v_add_f64_e64 v[18:19], v[16:17], -v[44:45]
	v_add_f64_e32 v[14:15], v[46:47], v[14:15]
	s_delay_alu instid0(VALU_DEP_2) | instskip(NEXT) | instid1(VALU_DEP_1)
	v_add_f64_e64 v[0:1], v[0:1], -v[18:19]
	v_add_f64_e32 v[0:1], v[14:15], v[0:1]
	s_delay_alu instid0(VALU_DEP_1) | instskip(NEXT) | instid1(VALU_DEP_1)
	v_add_f64_e32 v[14:15], v[16:17], v[0:1]
	v_add_f64_e64 v[16:17], v[14:15], -v[16:17]
	s_delay_alu instid0(VALU_DEP_1) | instskip(SKIP_1) | instid1(VALU_DEP_1)
	v_add_f64_e64 v[0:1], v[0:1], -v[16:17]
	v_add_f64_e32 v[16:17], v[22:23], v[14:15]
	v_add_f64_e64 v[18:19], v[16:17], -v[22:23]
	s_delay_alu instid0(VALU_DEP_1) | instskip(SKIP_2) | instid1(VALU_DEP_3)
	v_add_f64_e64 v[20:21], v[16:17], -v[18:19]
	v_add_f64_e64 v[14:15], v[14:15], -v[18:19]
	v_add_f64_e32 v[18:19], v[42:43], v[0:1]
	v_add_f64_e64 v[20:21], v[22:23], -v[20:21]
	s_delay_alu instid0(VALU_DEP_1) | instskip(NEXT) | instid1(VALU_DEP_3)
	v_add_f64_e32 v[14:15], v[14:15], v[20:21]
	v_add_f64_e64 v[20:21], v[18:19], -v[42:43]
	s_delay_alu instid0(VALU_DEP_2) | instskip(NEXT) | instid1(VALU_DEP_2)
	v_add_f64_e32 v[14:15], v[18:19], v[14:15]
	v_add_f64_e64 v[22:23], v[18:19], -v[20:21]
	v_add_f64_e64 v[0:1], v[0:1], -v[20:21]
	s_delay_alu instid0(VALU_DEP_3) | instskip(NEXT) | instid1(VALU_DEP_3)
	v_add_f64_e32 v[18:19], v[16:17], v[14:15]
	v_add_f64_e64 v[22:23], v[42:43], -v[22:23]
	s_delay_alu instid0(VALU_DEP_2) | instskip(NEXT) | instid1(VALU_DEP_2)
	v_add_f64_e64 v[16:17], v[18:19], -v[16:17]
	v_add_f64_e32 v[0:1], v[0:1], v[22:23]
	s_delay_alu instid0(VALU_DEP_2) | instskip(NEXT) | instid1(VALU_DEP_1)
	v_add_f64_e64 v[14:15], v[14:15], -v[16:17]
	v_add_f64_e32 v[0:1], v[0:1], v[14:15]
	s_delay_alu instid0(VALU_DEP_1) | instskip(NEXT) | instid1(VALU_DEP_1)
	v_add_f64_e32 v[14:15], v[18:19], v[0:1]
	v_add_f64_e64 v[16:17], v[14:15], -v[18:19]
	s_delay_alu instid0(VALU_DEP_1) | instskip(SKIP_1) | instid1(VALU_DEP_1)
	v_add_f64_e64 v[0:1], v[0:1], -v[16:17]
	v_mul_f64_e32 v[16:17], s[2:3], v[14:15]
	v_fma_f64 v[14:15], s[2:3], v[14:15], -v[16:17]
	v_cmp_class_f64_e64 vcc_lo, v[16:17], 0x204
	s_delay_alu instid0(VALU_DEP_2) | instskip(NEXT) | instid1(VALU_DEP_1)
	v_fmac_f64_e32 v[14:15], s[2:3], v[0:1]
	v_add_f64_e32 v[0:1], v[16:17], v[14:15]
	s_delay_alu instid0(VALU_DEP_1) | instskip(SKIP_1) | instid1(VALU_DEP_1)
	v_add_f64_e64 v[18:19], v[0:1], -v[16:17]
	v_dual_cndmask_b32 v1, v1, v17 :: v_dual_cndmask_b32 v0, v0, v16
	v_mul_f64_e32 v[16:17], 0x3ff71547652b82fe, v[0:1]
	v_cmp_neq_f64_e64 vcc_lo, 0x7ff00000, |v[0:1]|
	v_cmp_ngt_f64_e64 s1, 0xc090cc00, v[0:1]
	v_add_f64_e64 v[14:15], v[14:15], -v[18:19]
	s_delay_alu instid0(VALU_DEP_4) | instskip(NEXT) | instid1(VALU_DEP_2)
	v_rndne_f64_e32 v[16:17], v[16:17]
	v_dual_cndmask_b32 v15, 0, v15 :: v_dual_cndmask_b32 v14, 0, v14
	v_cmp_nlt_f64_e32 vcc_lo, 0x40900000, v[0:1]
	s_delay_alu instid0(VALU_DEP_3) | instskip(SKIP_1) | instid1(VALU_DEP_2)
	v_fmamk_f64 v[18:19], v[16:17], 0xbfe62e42fefa39ef, v[0:1]
	v_cvt_i32_f64_e32 v4, v[16:17]
	v_fmac_f64_e32 v[18:19], 0xbc7abc9e3b39803f, v[16:17]
	s_and_b32 s14, s1, vcc_lo
	s_delay_alu instid0(SALU_CYCLE_1) | instskip(NEXT) | instid1(VALU_DEP_1)
	s_and_b32 s14, s14, exec_lo
	v_fmamk_f64 v[20:21], v[18:19], 0x3e5ade156a5dcb37, v[54:55]
	s_delay_alu instid0(VALU_DEP_1) | instskip(NEXT) | instid1(VALU_DEP_1)
	v_fmaak_f64 v[20:21], v[18:19], v[20:21], 0x3ec71dee623fde64
	v_fmaak_f64 v[20:21], v[18:19], v[20:21], 0x3efa01997c89e6b0
	s_delay_alu instid0(VALU_DEP_1) | instskip(NEXT) | instid1(VALU_DEP_1)
	v_fmaak_f64 v[20:21], v[18:19], v[20:21], 0x3f2a01a014761f6e
	v_fmaak_f64 v[20:21], v[18:19], v[20:21], 0x3f56c16c1852b7b0
	;; [unrolled: 3-line block ×4, first 2 shown]
	s_delay_alu instid0(VALU_DEP_1) | instskip(NEXT) | instid1(VALU_DEP_1)
	v_fma_f64 v[20:21], v[18:19], v[20:21], 1.0
	v_fma_f64 v[18:19], v[18:19], v[20:21], 1.0
	s_delay_alu instid0(VALU_DEP_1) | instskip(NEXT) | instid1(VALU_DEP_1)
	v_ldexp_f64 v[16:17], v[18:19], v4
	v_readfirstlane_b32 s13, v16
	s_delay_alu instid0(VALU_DEP_2)
	v_cndmask_b32_e32 v4, 0x7ff00000, v17, vcc_lo
	s_cselect_b32 s13, s13, 0
	s_delay_alu instid0(VALU_DEP_1) | instid1(SALU_CYCLE_1)
	v_dual_cndmask_b32 v1, 0, v4, s1 :: v_dual_mov_b32 v0, s13
	s_delay_alu instid0(VALU_DEP_1) | instskip(SKIP_1) | instid1(VALU_DEP_2)
	v_fma_f64 v[14:15], v[0:1], v[14:15], v[0:1]
	v_cmp_class_f64_e64 vcc_lo, v[0:1], 0x204
	v_readfirstlane_b32 s1, v14
	s_delay_alu instid0(VALU_DEP_3) | instskip(SKIP_3) | instid1(VALU_DEP_1)
	v_cndmask_b32_e32 v4, v15, v1, vcc_lo
	v_trunc_f64_e32 v[0:1], s[2:3]
	s_and_b32 s14, vcc_lo, exec_lo
	s_cselect_b32 s13, s13, s1
	v_cmp_eq_f64_e32 vcc_lo, s[2:3], v[0:1]
	v_mul_f64_e64 v[0:1], s[2:3], 0.5
	v_cmp_gt_f64_e64 s2, 0, v[6:7]
	s_delay_alu instid0(VALU_DEP_2) | instskip(NEXT) | instid1(VALU_DEP_1)
	v_trunc_f64_e32 v[14:15], v[0:1]
	v_cmp_neq_f64_e64 s1, v[14:15], v[0:1]
	s_and_b32 s1, vcc_lo, s1
	s_and_b32 s3, vcc_lo, exec_lo
	v_cndmask_b32_e64 v0, 0x3ff00000, v7, s1
	s_cselect_b32 s3, s13, 0
	s_and_b32 s14, s2, exec_lo
	s_cselect_b32 s3, s3, s13
	s_mov_b64 s[14:15], 0xbff921fb54442d18
	v_bfi_b32 v0, 0x7fffffff, v4, v0
	s_delay_alu instid0(VALU_DEP_1) | instskip(SKIP_1) | instid1(VALU_DEP_2)
	v_cndmask_b32_e32 v1, 0x7ff80000, v0, vcc_lo
	v_cmp_eq_f64_e32 vcc_lo, 0, v[6:7]
	v_cndmask_b32_e64 v0, v0, v1, s2
	v_cmp_class_f64_e64 s2, v[6:7], 0x204
	v_cndmask_b32_e64 v1, 0, v7, s1
	s_or_b32 s2, vcc_lo, s2
	s_and_b32 s13, vcc_lo, exec_lo
	v_cmp_o_f64_e32 vcc_lo, v[6:7], v[6:7]
	s_cselect_b32 s13, 0, 0x7ff00000
	s_and_b32 s1, s2, exec_lo
	v_bfi_b32 v1, 0x7fffffff, s13, v1
	s_cselect_b32 s1, 0, s3
	s_delay_alu instid0(VALU_DEP_1) | instskip(SKIP_2) | instid1(VALU_DEP_1)
	v_cndmask_b32_e64 v0, v0, v1, s2
	s_and_b32 s2, vcc_lo, exec_lo
	s_cselect_b32 s1, s1, 0
	v_cndmask_b32_e32 v1, 0x7ff80000, v0, vcc_lo
	v_mov_b32_e32 v0, s1
	s_delay_alu instid0(VALU_DEP_1) | instskip(SKIP_1) | instid1(VALU_DEP_1)
	v_fma_f64 v[22:23], v[0:1], v[2:3], 1.0
	v_add_f64_e64 v[2:3], -s[8:9], 1.0
	v_cmp_eq_f64_e32 vcc_lo, 1.0, v[2:3]
	v_frexp_mant_f64_e64 v[0:1], |v[2:3]|
	v_frexp_exp_i32_f64_e32 v4, v[2:3]
	s_and_b32 s1, vcc_lo, exec_lo
	s_delay_alu instid0(VALU_DEP_2) | instskip(SKIP_3) | instid1(VALU_DEP_1)
	v_cmp_gt_f64_e32 vcc_lo, s[4:5], v[0:1]
	s_cselect_b32 s3, s12, 0x3fd55555
	s_cselect_b32 s2, 0, 0x55555555
	v_cndmask_b32_e64 v5, 0, 1, vcc_lo
	v_ldexp_f64 v[6:7], v[0:1], v5
	s_delay_alu instid0(VALU_DEP_4) | instskip(NEXT) | instid1(VALU_DEP_1)
	v_subrev_co_ci_u32_e64 v0, null, 0, v4, vcc_lo
	v_cvt_f64_i32_e32 v[0:1], v0
	s_delay_alu instid0(VALU_DEP_3) | instskip(SKIP_1) | instid1(VALU_DEP_2)
	v_add_f64_e32 v[16:17], 1.0, v[6:7]
	v_add_f64_e32 v[18:19], -1.0, v[6:7]
	v_add_f64_e32 v[14:15], -1.0, v[16:17]
	s_delay_alu instid0(VALU_DEP_1) | instskip(SKIP_2) | instid1(TRANS32_DEP_1)
	v_add_f64_e64 v[20:21], v[6:7], -v[14:15]
	v_rcp_f64_e32 v[6:7], v[16:17]
	v_nop
	v_fma_f64 v[14:15], -v[16:17], v[6:7], 1.0
	s_delay_alu instid0(VALU_DEP_1) | instskip(NEXT) | instid1(VALU_DEP_1)
	v_fmac_f64_e32 v[6:7], v[14:15], v[6:7]
	v_fma_f64 v[14:15], -v[16:17], v[6:7], 1.0
	s_delay_alu instid0(VALU_DEP_1) | instskip(NEXT) | instid1(VALU_DEP_1)
	v_fmac_f64_e32 v[6:7], v[14:15], v[6:7]
	v_mul_f64_e32 v[14:15], v[18:19], v[6:7]
	s_delay_alu instid0(VALU_DEP_1) | instskip(NEXT) | instid1(VALU_DEP_1)
	v_mul_f64_e32 v[42:43], v[16:17], v[14:15]
	v_fma_f64 v[44:45], v[14:15], v[16:17], -v[42:43]
	s_delay_alu instid0(VALU_DEP_1) | instskip(NEXT) | instid1(VALU_DEP_1)
	v_fmac_f64_e32 v[44:45], v[14:15], v[20:21]
	v_add_f64_e32 v[20:21], v[42:43], v[44:45]
	s_delay_alu instid0(VALU_DEP_1) | instskip(SKIP_1) | instid1(VALU_DEP_2)
	v_add_f64_e64 v[16:17], v[18:19], -v[20:21]
	v_add_f64_e64 v[42:43], v[20:21], -v[42:43]
	;; [unrolled: 1-line block ×3, first 2 shown]
	s_delay_alu instid0(VALU_DEP_1) | instskip(NEXT) | instid1(VALU_DEP_3)
	v_add_f64_e64 v[18:19], v[18:19], -v[20:21]
	v_add_f64_e64 v[20:21], v[42:43], -v[44:45]
	s_delay_alu instid0(VALU_DEP_1) | instskip(NEXT) | instid1(VALU_DEP_1)
	v_add_f64_e32 v[18:19], v[20:21], v[18:19]
	v_add_f64_e32 v[16:17], v[16:17], v[18:19]
	s_delay_alu instid0(VALU_DEP_1) | instskip(NEXT) | instid1(VALU_DEP_1)
	v_mul_f64_e32 v[6:7], v[6:7], v[16:17]
	v_add_f64_e32 v[20:21], v[14:15], v[6:7]
	s_delay_alu instid0(VALU_DEP_1) | instskip(SKIP_1) | instid1(VALU_DEP_2)
	v_add_f64_e64 v[14:15], v[20:21], -v[14:15]
	v_ldexp_f64 v[18:19], v[20:21], 1
	v_add_f64_e64 v[42:43], v[6:7], -v[14:15]
	v_mul_f64_e32 v[6:7], v[20:21], v[20:21]
	s_delay_alu instid0(VALU_DEP_2) | instskip(NEXT) | instid1(VALU_DEP_2)
	v_add_f64_e32 v[16:17], v[42:43], v[42:43]
	v_fma_f64 v[14:15], v[20:21], v[20:21], -v[6:7]
	s_delay_alu instid0(VALU_DEP_1) | instskip(NEXT) | instid1(VALU_DEP_1)
	v_fmac_f64_e32 v[14:15], v[20:21], v[16:17]
	v_add_f64_e32 v[48:49], v[6:7], v[14:15]
	s_delay_alu instid0(VALU_DEP_1) | instskip(NEXT) | instid1(VALU_DEP_1)
	v_add_f64_e64 v[6:7], v[48:49], -v[6:7]
	v_add_f64_e64 v[44:45], v[14:15], -v[6:7]
	v_fmamk_f64 v[6:7], v[48:49], 0x3fbdee674222de17, v[12:13]
	s_delay_alu instid0(VALU_DEP_1) | instskip(NEXT) | instid1(VALU_DEP_1)
	v_fmaak_f64 v[6:7], v[48:49], v[6:7], 0x3fbe25e43abe935a
	v_fmaak_f64 v[6:7], v[48:49], v[6:7], 0x3fc110ef47e6c9c2
	s_delay_alu instid0(VALU_DEP_1) | instskip(NEXT) | instid1(VALU_DEP_1)
	v_fmaak_f64 v[6:7], v[48:49], v[6:7], 0x3fc3b13bcfa74449
	v_fmaak_f64 v[6:7], v[48:49], v[6:7], 0x3fc745d171bf3c30
	;; [unrolled: 3-line block ×3, first 2 shown]
	s_delay_alu instid0(VALU_DEP_1) | instskip(SKIP_1) | instid1(VALU_DEP_1)
	v_fmaak_f64 v[50:51], v[48:49], v[6:7], 0x3fd999999999999c
	v_mul_f64_e32 v[6:7], 0x3fe62e42fefa39ef, v[0:1]
	v_fma_f64 v[16:17], v[0:1], s[6:7], -v[6:7]
	s_delay_alu instid0(VALU_DEP_1) | instskip(NEXT) | instid1(VALU_DEP_1)
	v_fmac_f64_e32 v[16:17], 0x3c7abc9e3b39803f, v[0:1]
	v_add_f64_e32 v[14:15], v[6:7], v[16:17]
	s_delay_alu instid0(VALU_DEP_1) | instskip(NEXT) | instid1(VALU_DEP_1)
	v_add_f64_e64 v[0:1], v[14:15], -v[6:7]
	v_add_f64_e64 v[6:7], v[16:17], -v[0:1]
	v_mul_f64_e32 v[0:1], v[20:21], v[48:49]
	v_ldexp_f64 v[16:17], v[42:43], 1
	s_delay_alu instid0(VALU_DEP_2) | instskip(NEXT) | instid1(VALU_DEP_1)
	v_fma_f64 v[46:47], v[48:49], v[20:21], -v[0:1]
	v_fmac_f64_e32 v[46:47], v[48:49], v[42:43]
	s_delay_alu instid0(VALU_DEP_1) | instskip(NEXT) | instid1(VALU_DEP_1)
	v_fmac_f64_e32 v[46:47], v[44:45], v[20:21]
	v_add_f64_e32 v[42:43], v[0:1], v[46:47]
	s_delay_alu instid0(VALU_DEP_1) | instskip(NEXT) | instid1(VALU_DEP_1)
	v_add_f64_e64 v[0:1], v[42:43], -v[0:1]
	v_add_f64_e64 v[20:21], v[46:47], -v[0:1]
	v_mul_f64_e32 v[46:47], v[48:49], v[50:51]
	s_delay_alu instid0(VALU_DEP_1) | instskip(NEXT) | instid1(VALU_DEP_1)
	v_fma_f64 v[52:53], v[48:49], v[50:51], -v[46:47]
	v_fmac_f64_e32 v[52:53], v[44:45], v[50:51]
	s_delay_alu instid0(VALU_DEP_1) | instskip(NEXT) | instid1(VALU_DEP_1)
	v_add_f64_e32 v[48:49], v[46:47], v[52:53]
	v_add_f64_e64 v[0:1], v[48:49], -v[46:47]
	v_add_f64_e32 v[44:45], 0x3fe5555555555555, v[48:49]
	s_delay_alu instid0(VALU_DEP_2) | instskip(NEXT) | instid1(VALU_DEP_2)
	v_add_f64_e64 v[46:47], v[52:53], -v[0:1]
	v_add_f64_e32 v[0:1], 0xbfe5555555555555, v[44:45]
	s_delay_alu instid0(VALU_DEP_2) | instskip(NEXT) | instid1(VALU_DEP_2)
	v_add_f64_e32 v[46:47], 0x3c8543b0d5df274d, v[46:47]
	v_add_f64_e64 v[0:1], v[48:49], -v[0:1]
	s_delay_alu instid0(VALU_DEP_1) | instskip(NEXT) | instid1(VALU_DEP_1)
	v_add_f64_e32 v[48:49], v[46:47], v[0:1]
	v_add_f64_e32 v[46:47], v[44:45], v[48:49]
	s_delay_alu instid0(VALU_DEP_1) | instskip(SKIP_1) | instid1(VALU_DEP_2)
	v_add_f64_e64 v[0:1], v[44:45], -v[46:47]
	v_mul_f64_e32 v[44:45], v[42:43], v[46:47]
	v_add_f64_e32 v[50:51], v[48:49], v[0:1]
	s_delay_alu instid0(VALU_DEP_2) | instskip(NEXT) | instid1(VALU_DEP_1)
	v_fma_f64 v[48:49], v[42:43], v[46:47], -v[44:45]
	v_fmac_f64_e32 v[48:49], v[42:43], v[50:51]
	s_delay_alu instid0(VALU_DEP_1) | instskip(NEXT) | instid1(VALU_DEP_1)
	v_fmac_f64_e32 v[48:49], v[20:21], v[46:47]
	v_add_f64_e32 v[0:1], v[44:45], v[48:49]
	s_delay_alu instid0(VALU_DEP_1) | instskip(SKIP_1) | instid1(VALU_DEP_2)
	v_add_f64_e64 v[20:21], v[0:1], -v[44:45]
	v_add_f64_e32 v[42:43], v[18:19], v[0:1]
	v_add_f64_e64 v[20:21], v[48:49], -v[20:21]
	s_delay_alu instid0(VALU_DEP_2) | instskip(NEXT) | instid1(VALU_DEP_2)
	v_add_f64_e64 v[18:19], v[42:43], -v[18:19]
	v_add_f64_e32 v[16:17], v[16:17], v[20:21]
	s_delay_alu instid0(VALU_DEP_2) | instskip(NEXT) | instid1(VALU_DEP_1)
	v_add_f64_e64 v[0:1], v[0:1], -v[18:19]
	v_add_f64_e32 v[0:1], v[16:17], v[0:1]
	s_delay_alu instid0(VALU_DEP_1) | instskip(NEXT) | instid1(VALU_DEP_1)
	v_add_f64_e32 v[16:17], v[42:43], v[0:1]
	v_add_f64_e64 v[18:19], v[16:17], -v[42:43]
	s_delay_alu instid0(VALU_DEP_1) | instskip(SKIP_1) | instid1(VALU_DEP_1)
	v_add_f64_e64 v[0:1], v[0:1], -v[18:19]
	v_add_f64_e32 v[18:19], v[14:15], v[16:17]
	v_add_f64_e64 v[20:21], v[18:19], -v[14:15]
	s_delay_alu instid0(VALU_DEP_1) | instskip(SKIP_1) | instid1(VALU_DEP_2)
	v_add_f64_e64 v[42:43], v[18:19], -v[20:21]
	v_add_f64_e64 v[16:17], v[16:17], -v[20:21]
	;; [unrolled: 1-line block ×3, first 2 shown]
	s_delay_alu instid0(VALU_DEP_1) | instskip(SKIP_1) | instid1(VALU_DEP_1)
	v_add_f64_e32 v[14:15], v[16:17], v[14:15]
	v_add_f64_e32 v[16:17], v[6:7], v[0:1]
	v_add_f64_e64 v[20:21], v[16:17], -v[6:7]
	s_delay_alu instid0(VALU_DEP_1) | instskip(SKIP_1) | instid1(VALU_DEP_2)
	v_add_f64_e64 v[42:43], v[16:17], -v[20:21]
	v_add_f64_e64 v[0:1], v[0:1], -v[20:21]
	;; [unrolled: 1-line block ×3, first 2 shown]
	s_delay_alu instid0(VALU_DEP_1) | instskip(SKIP_1) | instid1(VALU_DEP_1)
	v_add_f64_e32 v[0:1], v[0:1], v[6:7]
	v_add_f64_e32 v[6:7], v[16:17], v[14:15]
	;; [unrolled: 1-line block ×3, first 2 shown]
	s_delay_alu instid0(VALU_DEP_1) | instskip(NEXT) | instid1(VALU_DEP_1)
	v_add_f64_e64 v[16:17], v[14:15], -v[18:19]
	v_add_f64_e64 v[6:7], v[6:7], -v[16:17]
	s_delay_alu instid0(VALU_DEP_1) | instskip(NEXT) | instid1(VALU_DEP_1)
	v_add_f64_e32 v[0:1], v[0:1], v[6:7]
	v_add_f64_e32 v[6:7], v[14:15], v[0:1]
	s_delay_alu instid0(VALU_DEP_1) | instskip(NEXT) | instid1(VALU_DEP_1)
	v_add_f64_e64 v[14:15], v[6:7], -v[14:15]
	v_add_f64_e64 v[0:1], v[0:1], -v[14:15]
	v_mul_f64_e32 v[14:15], s[2:3], v[6:7]
	s_delay_alu instid0(VALU_DEP_1) | instskip(SKIP_1) | instid1(VALU_DEP_2)
	v_fma_f64 v[6:7], s[2:3], v[6:7], -v[14:15]
	v_cmp_class_f64_e64 vcc_lo, v[14:15], 0x204
	v_fmac_f64_e32 v[6:7], s[2:3], v[0:1]
	s_delay_alu instid0(VALU_DEP_1) | instskip(NEXT) | instid1(VALU_DEP_1)
	v_add_f64_e32 v[0:1], v[14:15], v[6:7]
	v_add_f64_e64 v[16:17], v[0:1], -v[14:15]
	v_dual_cndmask_b32 v1, v1, v15 :: v_dual_cndmask_b32 v0, v0, v14
	s_delay_alu instid0(VALU_DEP_1) | instskip(SKIP_3) | instid1(VALU_DEP_4)
	v_mul_f64_e32 v[14:15], 0x3ff71547652b82fe, v[0:1]
	v_cmp_neq_f64_e64 vcc_lo, 0x7ff00000, |v[0:1]|
	v_cmp_ngt_f64_e64 s1, 0xc090cc00, v[0:1]
	v_add_f64_e64 v[6:7], v[6:7], -v[16:17]
	v_rndne_f64_e32 v[14:15], v[14:15]
	s_delay_alu instid0(VALU_DEP_2) | instskip(SKIP_1) | instid1(VALU_DEP_3)
	v_dual_cndmask_b32 v7, 0, v7 :: v_dual_cndmask_b32 v6, 0, v6
	v_cmp_nlt_f64_e32 vcc_lo, 0x40900000, v[0:1]
	v_fmamk_f64 v[16:17], v[14:15], 0xbfe62e42fefa39ef, v[0:1]
	v_cvt_i32_f64_e32 v4, v[14:15]
	s_delay_alu instid0(VALU_DEP_2) | instskip(SKIP_1) | instid1(SALU_CYCLE_1)
	v_fmac_f64_e32 v[16:17], 0xbc7abc9e3b39803f, v[14:15]
	s_and_b32 s13, s1, vcc_lo
	s_and_b32 s13, s13, exec_lo
	s_delay_alu instid0(VALU_DEP_1) | instskip(NEXT) | instid1(VALU_DEP_1)
	v_fmamk_f64 v[18:19], v[16:17], 0x3e5ade156a5dcb37, v[54:55]
	v_fmaak_f64 v[18:19], v[16:17], v[18:19], 0x3ec71dee623fde64
	s_delay_alu instid0(VALU_DEP_1) | instskip(NEXT) | instid1(VALU_DEP_1)
	v_fmaak_f64 v[18:19], v[16:17], v[18:19], 0x3efa01997c89e6b0
	v_fmaak_f64 v[18:19], v[16:17], v[18:19], 0x3f2a01a014761f6e
	s_delay_alu instid0(VALU_DEP_1) | instskip(NEXT) | instid1(VALU_DEP_1)
	v_fmaak_f64 v[18:19], v[16:17], v[18:19], 0x3f56c16c1852b7b0
	;; [unrolled: 3-line block ×4, first 2 shown]
	v_fma_f64 v[18:19], v[16:17], v[18:19], 1.0
	s_delay_alu instid0(VALU_DEP_1) | instskip(NEXT) | instid1(VALU_DEP_1)
	v_fma_f64 v[16:17], v[16:17], v[18:19], 1.0
	v_ldexp_f64 v[14:15], v[16:17], v4
	s_delay_alu instid0(VALU_DEP_1) | instskip(NEXT) | instid1(VALU_DEP_2)
	v_readfirstlane_b32 s12, v14
	v_cndmask_b32_e32 v4, 0x7ff00000, v15, vcc_lo
	s_cselect_b32 s12, s12, 0
	s_delay_alu instid0(VALU_DEP_1) | instid1(SALU_CYCLE_1)
	v_dual_cndmask_b32 v1, 0, v4, s1 :: v_dual_mov_b32 v0, s12
	s_delay_alu instid0(VALU_DEP_1) | instskip(SKIP_1) | instid1(VALU_DEP_2)
	v_fma_f64 v[6:7], v[0:1], v[6:7], v[0:1]
	v_cmp_class_f64_e64 vcc_lo, v[0:1], 0x204
	v_readfirstlane_b32 s1, v6
	s_delay_alu instid0(VALU_DEP_3) | instskip(SKIP_3) | instid1(VALU_DEP_1)
	v_cndmask_b32_e32 v4, v7, v1, vcc_lo
	v_trunc_f64_e32 v[0:1], s[2:3]
	s_and_b32 s13, vcc_lo, exec_lo
	s_cselect_b32 s12, s12, s1
	v_cmp_eq_f64_e32 vcc_lo, s[2:3], v[0:1]
	v_mul_f64_e64 v[0:1], s[2:3], 0.5
	v_cmp_gt_f64_e64 s2, 0, v[2:3]
	s_delay_alu instid0(VALU_DEP_2) | instskip(NEXT) | instid1(VALU_DEP_1)
	v_trunc_f64_e32 v[6:7], v[0:1]
	v_cmp_neq_f64_e64 s1, v[6:7], v[0:1]
	s_and_b32 s1, vcc_lo, s1
	s_and_b32 s3, vcc_lo, exec_lo
	v_cndmask_b32_e64 v0, 0x3ff00000, v3, s1
	s_cselect_b32 s3, s12, 0
	s_and_b32 s13, s2, exec_lo
	s_cselect_b32 s3, s3, s12
	s_delay_alu instid0(VALU_DEP_1) | instskip(SKIP_1) | instid1(VALU_DEP_2)
	v_bfi_b32 v0, 0x7fffffff, v4, v0
	v_and_b32_e32 v4, 1, v80
	v_cndmask_b32_e32 v1, 0x7ff80000, v0, vcc_lo
	v_cmp_eq_f64_e32 vcc_lo, 0, v[2:3]
	s_delay_alu instid0(VALU_DEP_2)
	v_cndmask_b32_e64 v0, v0, v1, s2
	v_cmp_class_f64_e64 s2, v[2:3], 0x204
	v_cndmask_b32_e64 v1, 0, v3, s1
	s_or_b32 s2, vcc_lo, s2
	s_and_b32 s12, vcc_lo, exec_lo
	v_cmp_o_f64_e32 vcc_lo, v[2:3], v[2:3]
	s_cselect_b32 s12, 0, 0x7ff00000
	s_and_b32 s1, s2, exec_lo
	v_bfi_b32 v1, 0x7fffffff, s12, v1
	s_cselect_b32 s1, 0, s3
	v_mul_f64_e64 v[2:3], 0x40080000, s[8:9]
	s_mov_b64 s[12:13], 0x3fe45f306dc9c883
                                        ; implicit-def: $sgpr3
	s_delay_alu instid0(VALU_DEP_2) | instskip(SKIP_2) | instid1(VALU_DEP_1)
	v_cndmask_b32_e64 v0, v0, v1, s2
	s_and_b32 s2, vcc_lo, exec_lo
	s_cselect_b32 s1, s1, 0
	v_cndmask_b32_e32 v1, 0x7ff80000, v0, vcc_lo
	v_mov_b32_e32 v0, s1
	s_delay_alu instid0(VALU_DEP_1) | instskip(NEXT) | instid1(VALU_DEP_1)
	v_add_f64_e32 v[0:1], v[0:1], v[22:23]
	v_mul_f64_e32 v[6:7], v[0:1], v[0:1]
	s_delay_alu instid0(VALU_DEP_1) | instskip(NEXT) | instid1(VALU_DEP_1)
	v_fmac_f64_e32 v[6:7], s[8:9], v[2:3]
	v_cmp_gt_f64_e32 vcc_lo, 0x10000000, v[6:7]
	s_and_b32 s1, vcc_lo, exec_lo
	s_cselect_b32 s1, 0x100, 0
	s_delay_alu instid0(SALU_CYCLE_1) | instskip(SKIP_1) | instid1(VALU_DEP_1)
	v_ldexp_f64 v[2:3], v[6:7], s1
	s_cselect_b32 s1, 0xffffff80, 0
	v_rsq_f64_e32 v[6:7], v[2:3]
	v_cmp_class_f64_e64 vcc_lo, v[2:3], 0x260
	s_delay_alu instid0(TRANS32_DEP_1) | instskip(SKIP_1) | instid1(VALU_DEP_1)
	v_mul_f64_e32 v[14:15], v[2:3], v[6:7]
	v_mul_f64_e32 v[6:7], 0.5, v[6:7]
	v_fma_f64 v[16:17], -v[6:7], v[14:15], 0.5
	s_delay_alu instid0(VALU_DEP_1) | instskip(SKIP_1) | instid1(VALU_DEP_2)
	v_fmac_f64_e32 v[14:15], v[14:15], v[16:17]
	v_fmac_f64_e32 v[6:7], v[6:7], v[16:17]
	v_fma_f64 v[18:19], -v[14:15], v[14:15], v[2:3]
	s_delay_alu instid0(VALU_DEP_1) | instskip(NEXT) | instid1(VALU_DEP_1)
	v_fmac_f64_e32 v[14:15], v[18:19], v[6:7]
	v_fma_f64 v[16:17], -v[14:15], v[14:15], v[2:3]
	s_delay_alu instid0(VALU_DEP_1) | instskip(NEXT) | instid1(VALU_DEP_1)
	v_fmac_f64_e32 v[14:15], v[16:17], v[6:7]
	v_ldexp_f64 v[6:7], v[14:15], s1
	v_add_f64_e64 v[14:15], 0x40080000, -v[0:1]
	v_add_f64_e32 v[0:1], 0x40080000, v[0:1]
	s_delay_alu instid0(VALU_DEP_3) | instskip(NEXT) | instid1(VALU_DEP_1)
	v_dual_cndmask_b32 v3, v7, v3 :: v_dual_cndmask_b32 v2, v6, v2
	v_fmac_f64_e32 v[0:1], 2.0, v[2:3]
	v_add_f64_e32 v[6:7], 0x40080000, v[2:3]
	s_delay_alu instid0(VALU_DEP_2) | instskip(NEXT) | instid1(VALU_DEP_1)
	v_mul_f64_e32 v[0:1], v[14:15], v[0:1]
	v_cmp_gt_f64_e32 vcc_lo, 0x10000000, v[0:1]
	s_and_b32 s1, vcc_lo, exec_lo
	s_cselect_b32 s1, 0x100, 0
	s_delay_alu instid0(SALU_CYCLE_1) | instskip(SKIP_1) | instid1(VALU_DEP_1)
	v_ldexp_f64 v[0:1], v[0:1], s1
	s_cselect_b32 s1, 0xffffff80, 0
	v_rsq_f64_e32 v[2:3], v[0:1]
	v_cmp_class_f64_e64 vcc_lo, v[0:1], 0x260
	s_delay_alu instid0(TRANS32_DEP_1) | instskip(SKIP_1) | instid1(VALU_DEP_1)
	v_mul_f64_e32 v[14:15], v[0:1], v[2:3]
	v_mul_f64_e32 v[2:3], 0.5, v[2:3]
	v_fma_f64 v[16:17], -v[2:3], v[14:15], 0.5
	s_delay_alu instid0(VALU_DEP_1) | instskip(SKIP_1) | instid1(VALU_DEP_2)
	v_fmac_f64_e32 v[14:15], v[14:15], v[16:17]
	v_fmac_f64_e32 v[2:3], v[2:3], v[16:17]
	v_fma_f64 v[18:19], -v[14:15], v[14:15], v[0:1]
	s_delay_alu instid0(VALU_DEP_1) | instskip(NEXT) | instid1(VALU_DEP_1)
	v_fmac_f64_e32 v[14:15], v[18:19], v[2:3]
	v_fma_f64 v[16:17], -v[14:15], v[14:15], v[0:1]
	s_delay_alu instid0(VALU_DEP_1) | instskip(NEXT) | instid1(VALU_DEP_1)
	v_fmac_f64_e32 v[14:15], v[16:17], v[2:3]
	v_ldexp_f64 v[2:3], v[14:15], s1
	s_delay_alu instid0(VALU_DEP_1) | instskip(SKIP_1) | instid1(VALU_DEP_2)
	v_dual_cndmask_b32 v1, v3, v1 :: v_dual_cndmask_b32 v0, v2, v0
	v_cmp_eq_u32_e32 vcc_lo, 0, v4
	v_add_f64_e64 v[0:1], v[6:7], -v[0:1]
	s_delay_alu instid0(VALU_DEP_1) | instskip(NEXT) | instid1(VALU_DEP_1)
	v_cvt_f32_f64_e32 v0, v[0:1]
	v_cvt_f64_f32_e32 v[0:1], v0
	scratch_store_b64 off, v[0:1], off offset:144 ; 8-byte Folded Spill
	s_wait_xcnt 0x0
	v_mul_f64_e32 v[0:1], v[30:31], v[30:31]
	s_delay_alu instid0(VALU_DEP_1) | instskip(SKIP_1) | instid1(VALU_DEP_1)
	v_mul_f64_e32 v[2:3], 0.5, v[0:1]
	v_fmamk_f64 v[16:17], v[0:1], 0xbda907db46cc5e42, v[64:65]
	v_fmaak_f64 v[16:17], v[0:1], v[16:17], 0xbe927e4fa17f65f6
	s_delay_alu instid0(VALU_DEP_1) | instskip(NEXT) | instid1(VALU_DEP_1)
	v_fmaak_f64 v[16:17], v[0:1], v[16:17], 0x3efa01a019f4ec90
	v_fmaak_f64 v[16:17], v[0:1], v[16:17], 0xbf56c16c16c16967
	s_delay_alu instid0(VALU_DEP_1) | instskip(SKIP_1) | instid1(VALU_DEP_1)
	v_fmaak_f64 v[16:17], v[0:1], v[16:17], 0x3fa5555555555555
	v_add_f64_e64 v[6:7], -v[2:3], 1.0
	v_add_f64_e64 v[14:15], -v[6:7], 1.0
	s_delay_alu instid0(VALU_DEP_1) | instskip(SKIP_1) | instid1(VALU_DEP_2)
	v_add_f64_e64 v[2:3], v[14:15], -v[2:3]
	v_mul_f64_e32 v[14:15], v[0:1], v[0:1]
	v_fma_f64 v[2:3], v[30:31], -v[34:35], v[2:3]
	s_delay_alu instid0(VALU_DEP_1) | instskip(SKIP_2) | instid1(VALU_DEP_3)
	v_fmac_f64_e32 v[2:3], v[14:15], v[16:17]
	v_mul_f64_e64 v[14:15], v[30:31], -v[0:1]
	v_mul_f64_e32 v[16:17], 0.5, v[34:35]
	v_add_f64_e32 v[2:3], v[6:7], v[2:3]
	v_fmamk_f64 v[6:7], v[0:1], 0x3de5e0b2f9a43bb8, v[126:127]
	s_delay_alu instid0(VALU_DEP_1) | instskip(NEXT) | instid1(VALU_DEP_1)
	v_fmaak_f64 v[6:7], v[0:1], v[6:7], 0x3ec71de3796cde01
	v_fmaak_f64 v[6:7], v[0:1], v[6:7], 0xbf2a01a019e83e5c
	s_delay_alu instid0(VALU_DEP_1) | instskip(NEXT) | instid1(VALU_DEP_1)
	v_fmaak_f64 v[6:7], v[0:1], v[6:7], 0x3f81111111110bb3
	v_fmac_f64_e32 v[16:17], v[14:15], v[6:7]
	v_fma_f64 v[6:7], -2.0, v[110:111], v[36:37]
	s_delay_alu instid0(VALU_DEP_2) | instskip(NEXT) | instid1(VALU_DEP_1)
	v_fma_f64 v[0:1], v[0:1], v[16:17], -v[34:35]
	v_fmac_f64_e32 v[0:1], 0xbfc5555555555555, v[14:15]
	v_add_f64_e32 v[14:15], v[8:9], v[28:29]
	s_delay_alu instid0(VALU_DEP_2) | instskip(NEXT) | instid1(VALU_DEP_1)
	v_add_f64_e64 v[0:1], v[30:31], -v[0:1]
	v_cndmask_b32_e32 v0, v2, v0, vcc_lo
	s_delay_alu instid0(VALU_DEP_2) | instskip(NEXT) | instid1(VALU_DEP_1)
	v_dual_cndmask_b32 v1, v3, v1 :: v_dual_lshlrev_b32 v2, 30, v80
	v_dual_cndmask_b32 v0, 0, v0, s0 :: v_dual_bitop2_b32 v2, v2, v11 bitop3:0x14
	s_delay_alu instid0(VALU_DEP_1) | instskip(NEXT) | instid1(VALU_DEP_1)
	v_bitop3_b32 v1, v1, v2, 0x80000000 bitop3:0x78
	v_cndmask_b32_e64 v1, 0x7ff80000, v1, s0
	s_delay_alu instid0(VALU_DEP_1) | instskip(SKIP_1) | instid1(VALU_DEP_1)
	v_mul_f64_e32 v[2:3], v[0:1], v[0:1]
	v_mul_f64_e32 v[0:1], v[36:37], v[40:41]
	v_div_scale_f64 v[16:17], null, v[14:15], v[14:15], v[0:1]
	s_delay_alu instid0(VALU_DEP_1) | instskip(SKIP_1) | instid1(TRANS32_DEP_1)
	v_rcp_f64_e32 v[18:19], v[16:17]
	v_nop
	v_fma_f64 v[20:21], -v[16:17], v[18:19], 1.0
	s_delay_alu instid0(VALU_DEP_1) | instskip(NEXT) | instid1(VALU_DEP_1)
	v_fmac_f64_e32 v[18:19], v[18:19], v[20:21]
	v_fma_f64 v[20:21], -v[16:17], v[18:19], 1.0
	s_delay_alu instid0(VALU_DEP_1) | instskip(SKIP_1) | instid1(VALU_DEP_1)
	v_fmac_f64_e32 v[18:19], v[18:19], v[20:21]
	v_div_scale_f64 v[20:21], vcc_lo, v[0:1], v[14:15], v[0:1]
	v_mul_f64_e32 v[22:23], v[20:21], v[18:19]
	s_delay_alu instid0(VALU_DEP_1) | instskip(SKIP_1) | instid1(VALU_DEP_2)
	v_fma_f64 v[16:17], -v[16:17], v[22:23], v[20:21]
	v_mul_f64_e32 v[20:21], v[40:41], v[40:41]
	v_div_fmas_f64 v[16:17], v[16:17], v[18:19], v[22:23]
	s_delay_alu instid0(VALU_DEP_2) | instskip(SKIP_1) | instid1(VALU_DEP_3)
	v_div_scale_f64 v[22:23], null, v[14:15], v[14:15], v[20:21]
	v_div_scale_f64 v[30:31], vcc_lo, v[20:21], v[14:15], v[20:21]
	v_div_fixup_f64 v[18:19], v[16:17], v[14:15], v[0:1]
	s_delay_alu instid0(VALU_DEP_3) | instskip(SKIP_1) | instid1(TRANS32_DEP_1)
	v_rcp_f64_e32 v[28:29], v[22:23]
	v_mul_f64_e32 v[16:17], v[36:37], v[38:39]
	v_fma_f64 v[0:1], -v[22:23], v[28:29], 1.0
	s_delay_alu instid0(VALU_DEP_1) | instskip(NEXT) | instid1(VALU_DEP_1)
	v_fmac_f64_e32 v[28:29], v[28:29], v[0:1]
	v_fma_f64 v[0:1], -v[22:23], v[28:29], 1.0
	s_delay_alu instid0(VALU_DEP_1) | instskip(NEXT) | instid1(VALU_DEP_1)
	v_fmac_f64_e32 v[28:29], v[28:29], v[0:1]
	v_mul_f64_e32 v[0:1], v[30:31], v[28:29]
	s_delay_alu instid0(VALU_DEP_1) | instskip(NEXT) | instid1(VALU_DEP_1)
	v_fma_f64 v[22:23], -v[22:23], v[0:1], v[30:31]
	v_div_fmas_f64 v[0:1], v[22:23], v[28:29], v[0:1]
	s_delay_alu instid0(VALU_DEP_1) | instskip(SKIP_3) | instid1(VALU_DEP_4)
	v_div_fixup_f64 v[20:21], v[0:1], v[14:15], v[20:21]
	v_mul_f64_e32 v[0:1], v[14:15], v[2:3]
	v_mul_f64_e32 v[14:15], v[14:15], v[36:37]
	v_mov_b64_e32 v[36:37], v[110:111]
	v_fmac_f64_e32 v[20:21], v[38:39], v[38:39]
	s_delay_alu instid0(VALU_DEP_4) | instskip(NEXT) | instid1(VALU_DEP_1)
	v_mul_f64_e32 v[0:1], v[32:33], v[0:1]
	v_mul_f64_e32 v[0:1], v[32:33], v[0:1]
	s_delay_alu instid0(VALU_DEP_1) | instskip(NEXT) | instid1(VALU_DEP_1)
	v_fmac_f64_e32 v[0:1], v[6:7], v[20:21]
	v_cmp_gt_f64_e32 vcc_lo, 0x10000000, v[0:1]
	v_cndmask_b32_e64 v4, 0, 0x100, vcc_lo
	s_delay_alu instid0(VALU_DEP_1) | instskip(SKIP_3) | instid1(TRANS32_DEP_1)
	v_ldexp_f64 v[20:21], v[0:1], v4
	scratch_load_b64 v[4:5], off, off offset:160 ; 8-byte Folded Reload
	v_rsq_f64_e32 v[0:1], v[20:21]
	v_nop
	v_mul_f64_e32 v[22:23], v[20:21], v[0:1]
	v_mul_f64_e32 v[0:1], 0.5, v[0:1]
	s_delay_alu instid0(VALU_DEP_1) | instskip(NEXT) | instid1(VALU_DEP_1)
	v_fma_f64 v[28:29], -v[0:1], v[22:23], 0.5
	v_fmac_f64_e32 v[22:23], v[22:23], v[28:29]
	v_fmac_f64_e32 v[0:1], v[0:1], v[28:29]
	s_delay_alu instid0(VALU_DEP_2) | instskip(NEXT) | instid1(VALU_DEP_1)
	v_fma_f64 v[30:31], -v[22:23], v[22:23], v[20:21]
	v_fmac_f64_e32 v[22:23], v[30:31], v[0:1]
	s_delay_alu instid0(VALU_DEP_1) | instskip(NEXT) | instid1(VALU_DEP_1)
	v_fma_f64 v[28:29], -v[22:23], v[22:23], v[20:21]
	v_fmac_f64_e32 v[22:23], v[28:29], v[0:1]
	v_cndmask_b32_e64 v0, 0, 0xffffff80, vcc_lo
	v_cmp_class_f64_e64 vcc_lo, v[20:21], 0x260
	s_delay_alu instid0(VALU_DEP_2) | instskip(NEXT) | instid1(VALU_DEP_1)
	v_ldexp_f64 v[0:1], v[22:23], v0
	v_dual_cndmask_b32 v21, v1, v21 :: v_dual_cndmask_b32 v20, v0, v20
	s_delay_alu instid0(VALU_DEP_1) | instskip(NEXT) | instid1(VALU_DEP_1)
	v_div_scale_f64 v[0:1], null, v[20:21], v[20:21], v[18:19]
	v_rcp_f64_e32 v[22:23], v[0:1]
	v_nop
	s_delay_alu instid0(TRANS32_DEP_1) | instskip(NEXT) | instid1(VALU_DEP_1)
	v_fma_f64 v[28:29], -v[0:1], v[22:23], 1.0
	v_fmac_f64_e32 v[22:23], v[22:23], v[28:29]
	s_delay_alu instid0(VALU_DEP_1) | instskip(NEXT) | instid1(VALU_DEP_1)
	v_fma_f64 v[28:29], -v[0:1], v[22:23], 1.0
	v_fmac_f64_e32 v[22:23], v[22:23], v[28:29]
	v_div_scale_f64 v[28:29], vcc_lo, v[18:19], v[20:21], v[18:19]
	s_delay_alu instid0(VALU_DEP_1) | instskip(NEXT) | instid1(VALU_DEP_1)
	v_mul_f64_e32 v[30:31], v[28:29], v[22:23]
	v_fma_f64 v[0:1], -v[0:1], v[30:31], v[28:29]
	s_delay_alu instid0(VALU_DEP_1) | instskip(NEXT) | instid1(VALU_DEP_1)
	v_div_fmas_f64 v[0:1], v[0:1], v[22:23], v[30:31]
	v_div_fixup_f64 v[28:29], v[0:1], v[20:21], v[18:19]
	v_div_scale_f64 v[0:1], null, v[20:21], v[20:21], v[16:17]
	s_delay_alu instid0(VALU_DEP_1) | instskip(SKIP_1) | instid1(TRANS32_DEP_1)
	v_rcp_f64_e32 v[18:19], v[0:1]
	v_nop
	v_fma_f64 v[22:23], -v[0:1], v[18:19], 1.0
	s_delay_alu instid0(VALU_DEP_1) | instskip(NEXT) | instid1(VALU_DEP_1)
	v_fmac_f64_e32 v[18:19], v[18:19], v[22:23]
	v_fma_f64 v[22:23], -v[0:1], v[18:19], 1.0
	s_delay_alu instid0(VALU_DEP_1) | instskip(SKIP_1) | instid1(VALU_DEP_1)
	v_fmac_f64_e32 v[18:19], v[18:19], v[22:23]
	v_div_scale_f64 v[22:23], vcc_lo, v[16:17], v[20:21], v[16:17]
	v_mul_f64_e32 v[30:31], v[22:23], v[18:19]
	s_delay_alu instid0(VALU_DEP_1) | instskip(NEXT) | instid1(VALU_DEP_1)
	v_fma_f64 v[0:1], -v[0:1], v[30:31], v[22:23]
	v_div_fmas_f64 v[0:1], v[0:1], v[18:19], v[30:31]
	s_delay_alu instid0(VALU_DEP_1) | instskip(SKIP_2) | instid1(VALU_DEP_1)
	v_div_fixup_f64 v[62:63], v[0:1], v[20:21], v[16:17]
	s_wait_loadcnt 0x0
	v_mul_f64_e32 v[0:1], v[4:5], v[36:37]
	v_mul_f64_e32 v[0:1], v[0:1], v[20:21]
	s_delay_alu instid0(VALU_DEP_1) | instskip(NEXT) | instid1(VALU_DEP_1)
	v_fma_f64 v[0:1], v[14:15], v[32:33], -v[0:1]
	v_mul_f64_e32 v[14:15], v[2:3], v[0:1]
	s_delay_alu instid0(VALU_DEP_1) | instskip(NEXT) | instid1(VALU_DEP_1)
	v_div_scale_f64 v[16:17], null, v[6:7], v[6:7], v[14:15]
	v_rcp_f64_e32 v[18:19], v[16:17]
	v_nop
	s_delay_alu instid0(TRANS32_DEP_1) | instskip(NEXT) | instid1(VALU_DEP_1)
	v_fma_f64 v[0:1], -v[16:17], v[18:19], 1.0
	v_fmac_f64_e32 v[18:19], v[18:19], v[0:1]
	s_delay_alu instid0(VALU_DEP_1) | instskip(NEXT) | instid1(VALU_DEP_1)
	v_fma_f64 v[0:1], -v[16:17], v[18:19], 1.0
	v_fmac_f64_e32 v[18:19], v[18:19], v[0:1]
	v_div_scale_f64 v[0:1], vcc_lo, v[14:15], v[6:7], v[14:15]
	s_delay_alu instid0(VALU_DEP_1) | instskip(NEXT) | instid1(VALU_DEP_1)
	v_mul_f64_e32 v[22:23], v[0:1], v[18:19]
	v_fma_f64 v[0:1], -v[16:17], v[22:23], v[0:1]
	s_delay_alu instid0(VALU_DEP_1) | instskip(SKIP_1) | instid1(VALU_DEP_2)
	v_div_fmas_f64 v[0:1], v[0:1], v[18:19], v[22:23]
	v_mov_b64_e32 v[22:23], 0.5
	v_div_fixup_f64 v[0:1], v[0:1], v[6:7], v[14:15]
	s_delay_alu instid0(VALU_DEP_1) | instskip(NEXT) | instid1(VALU_DEP_1)
	v_div_scale_f64 v[6:7], null, v[20:21], v[20:21], v[0:1]
	v_rcp_f64_e32 v[14:15], v[6:7]
	v_nop
	s_delay_alu instid0(TRANS32_DEP_1) | instskip(NEXT) | instid1(VALU_DEP_1)
	v_fma_f64 v[16:17], -v[6:7], v[14:15], 1.0
	v_fmac_f64_e32 v[14:15], v[14:15], v[16:17]
	s_delay_alu instid0(VALU_DEP_1) | instskip(NEXT) | instid1(VALU_DEP_1)
	v_fma_f64 v[16:17], -v[6:7], v[14:15], 1.0
	v_fmac_f64_e32 v[14:15], v[14:15], v[16:17]
	v_div_scale_f64 v[16:17], vcc_lo, v[0:1], v[20:21], v[0:1]
	s_delay_alu instid0(VALU_DEP_1) | instskip(NEXT) | instid1(VALU_DEP_1)
	v_mul_f64_e32 v[18:19], v[16:17], v[14:15]
	v_fma_f64 v[6:7], -v[6:7], v[18:19], v[16:17]
	s_delay_alu instid0(VALU_DEP_1) | instskip(NEXT) | instid1(VALU_DEP_1)
	v_div_fmas_f64 v[6:7], v[6:7], v[14:15], v[18:19]
	v_div_fixup_f64 v[32:33], v[6:7], v[20:21], v[0:1]
	v_mul_f64_e32 v[6:7], v[62:63], v[62:63]
	s_delay_alu instid0(VALU_DEP_2) | instskip(NEXT) | instid1(VALU_DEP_2)
	v_mul_f64_e32 v[34:35], v[32:33], v[32:33]
	v_fmac_f64_e32 v[6:7], v[8:9], v[2:3]
	v_mul_f64_e32 v[66:67], v[4:5], v[32:33]
	s_delay_alu instid0(VALU_DEP_3) | instskip(NEXT) | instid1(VALU_DEP_1)
	v_div_scale_f64 v[0:1], null, v[2:3], v[2:3], v[34:35]
	v_rcp_f64_e32 v[14:15], v[0:1]
	v_nop
	s_delay_alu instid0(TRANS32_DEP_1) | instskip(NEXT) | instid1(VALU_DEP_1)
	v_fma_f64 v[16:17], -v[0:1], v[14:15], 1.0
	v_fmac_f64_e32 v[14:15], v[14:15], v[16:17]
	s_delay_alu instid0(VALU_DEP_1) | instskip(NEXT) | instid1(VALU_DEP_1)
	v_fma_f64 v[16:17], -v[0:1], v[14:15], 1.0
	v_fmac_f64_e32 v[14:15], v[14:15], v[16:17]
	v_div_scale_f64 v[16:17], vcc_lo, v[34:35], v[2:3], v[34:35]
	s_delay_alu instid0(VALU_DEP_1) | instskip(NEXT) | instid1(VALU_DEP_1)
	v_mul_f64_e32 v[18:19], v[16:17], v[14:15]
	v_fma_f64 v[0:1], -v[0:1], v[18:19], v[16:17]
	s_delay_alu instid0(VALU_DEP_1) | instskip(NEXT) | instid1(VALU_DEP_1)
	v_div_fmas_f64 v[0:1], v[0:1], v[14:15], v[18:19]
	v_div_fixup_f64 v[0:1], v[0:1], v[2:3], v[34:35]
	s_delay_alu instid0(VALU_DEP_1)
	v_add_f64_e32 v[0:1], v[6:7], v[0:1]
	s_clause 0x1
	scratch_store_b64 off, v[114:115], off offset:128
	scratch_store_b64 off, v[0:1], off offset:8
	s_wait_xcnt 0x0
	v_lshl_add_u32 v0, v79, 10, v78
	s_delay_alu instid0(VALU_DEP_1) | instskip(NEXT) | instid1(VALU_DEP_1)
	v_lshl_add_u32 v0, v0, 1, v0
	v_add_nc_u32_e32 v1, 1, v0
	s_wait_kmcnt 0x0
	global_store_b64 v0, v[26:27], s[10:11] scale_offset
	s_wait_xcnt 0x0
	v_dual_mov_b32 v26, 0 :: v_dual_add_nc_u32 v0, 2, v0
	global_store_b64 v1, v[24:25], s[10:11] scale_offset
	s_wait_xcnt 0x0
	v_mov_b32_e32 v1, v26
	s_delay_alu instid0(VALU_DEP_1)
	v_lshl_add_u64 v[2:3], v[0:1], 3, s[10:11]
	scratch_store_b64 off, v[2:3], off offset:168 ; 8-byte Folded Spill
	s_wait_xcnt 0x0
	v_mov_b64_e32 v[2:3], 0
	global_store_b64 v0, v[2:3], s[10:11] scale_offset
	s_wait_xcnt 0x0
	s_mov_b64 s[10:11], 0x3ff921fb54442d18
	s_branch .LBB0_78
.LBB0_77:                               ;   in Loop: Header=BB0_78 Depth=1
	s_wait_xcnt 0x0
	s_or_b32 exec_lo, exec_lo, s2
	s_clause 0x2
	scratch_load_b64 v[4:5], off, off offset:136 th:TH_LOAD_LU
	scratch_load_b64 v[0:1], off, off offset:128 th:TH_LOAD_LU
	;; [unrolled: 1-line block ×3, first 2 shown]
	v_fmac_f64_e32 v[62:63], 0x3fb90ee643b990ee, v[68:69]
	v_fmac_f64_e32 v[28:29], 0x3fb90ee643b990ee, v[72:73]
	s_and_b32 s0, exec_lo, s0
	s_delay_alu instid0(SALU_CYCLE_1) | instskip(SKIP_2) | instid1(SALU_CYCLE_1)
	s_or_b32 s22, s0, s22
	s_and_not1_b32 s0, s23, exec_lo
	s_and_b32 s1, s3, exec_lo
	s_or_b32 s23, s0, s1
	s_delay_alu instid0(VALU_DEP_2) | instskip(NEXT) | instid1(VALU_DEP_2)
	v_fmac_f64_e32 v[62:63], 0x3fd9c3d02e2bb280, v[76:77]
	v_fmac_f64_e32 v[28:29], 0x3fd9c3d02e2bb280, v[82:83]
	s_delay_alu instid0(VALU_DEP_2) | instskip(NEXT) | instid1(VALU_DEP_2)
	v_fmac_f64_e32 v[62:63], 0x3fcaef9f76166929, v[84:85]
	v_fmac_f64_e32 v[28:29], 0x3fcaef9f76166929, v[108:109]
	;; [unrolled: 3-line block ×3, first 2 shown]
	s_wait_loadcnt 0x2
	v_fmac_f64_e32 v[4:5], 0x3fb90ee643b990ee, v[100:101]
	s_wait_loadcnt 0x0
	v_fmac_f64_e32 v[0:1], 0x3fb90ee643b990ee, v[10:11]
	v_mov_b64_e32 v[10:11], v[24:25]
	s_delay_alu instid0(VALU_DEP_3) | instskip(NEXT) | instid1(VALU_DEP_3)
	v_fmac_f64_e32 v[4:5], 0x3fd9c3d02e2bb280, v[102:103]
	v_fmac_f64_e32 v[0:1], 0x3fd9c3d02e2bb280, v[92:93]
	s_delay_alu instid0(VALU_DEP_2) | instskip(NEXT) | instid1(VALU_DEP_2)
	v_fmac_f64_e32 v[4:5], 0x3fcaef9f76166929, v[106:107]
	v_fmac_f64_e32 v[0:1], 0x3fcaef9f76166929, v[104:105]
	s_delay_alu instid0(VALU_DEP_2) | instskip(NEXT) | instid1(VALU_DEP_2)
	v_fmac_f64_e32 v[4:5], 0x3fd280a685dab4b0, v[6:7]
	v_fmac_f64_e32 v[0:1], 0x3fd280a685dab4b0, v[2:3]
	s_clause 0x1
	scratch_store_b64 off, v[4:5], off offset:136
	scratch_store_b64 off, v[0:1], off offset:128
	s_wait_xcnt 0x0
	s_and_not1_b32 exec_lo, exec_lo, s22
	s_cbranch_execz .LBB0_146
.LBB0_78:                               ; =>This Loop Header: Depth=1
                                        ;     Child Loop BB0_90 Depth 2
	v_cmp_ngt_f64_e64 s0, 0x41d00000, |v[10:11]|
	v_trig_preop_f64 v[18:19], |v[10:11]|, 0
	v_trig_preop_f64 v[16:17], |v[10:11]|, 1
	v_ldexp_f64 v[20:21], |v[10:11]|, 0xffffff80
	v_trig_preop_f64 v[14:15], |v[10:11]|, 2
	v_and_b32_e32 v1, 0x7fffffff, v11
                                        ; implicit-def: $vgpr0
                                        ; implicit-def: $vgpr2_vgpr3
                                        ; implicit-def: $vgpr6_vgpr7
	s_and_saveexec_b32 s1, s0
	s_delay_alu instid0(SALU_CYCLE_1)
	s_xor_b32 s1, exec_lo, s1
	s_cbranch_execz .LBB0_80
; %bb.79:                               ;   in Loop: Header=BB0_78 Depth=1
	v_cmp_le_f64_e64 vcc_lo, 0x7b000000, |v[10:11]|
	s_delay_alu instid0(VALU_DEP_4) | instskip(NEXT) | instid1(VALU_DEP_1)
	v_dual_cndmask_b32 v3, v1, v21 :: v_dual_cndmask_b32 v2, v10, v20
	v_mul_f64_e32 v[6:7], v[18:19], v[2:3]
	v_mul_f64_e32 v[24:25], v[16:17], v[2:3]
	;; [unrolled: 1-line block ×3, first 2 shown]
	s_delay_alu instid0(VALU_DEP_3) | instskip(NEXT) | instid1(VALU_DEP_3)
	v_fma_f64 v[38:39], v[18:19], v[2:3], -v[6:7]
	v_fma_f64 v[50:51], v[16:17], v[2:3], -v[24:25]
	s_delay_alu instid0(VALU_DEP_3) | instskip(NEXT) | instid1(VALU_DEP_3)
	v_fma_f64 v[2:3], v[14:15], v[2:3], -v[48:49]
	v_add_f64_e32 v[40:41], v[24:25], v[38:39]
	s_delay_alu instid0(VALU_DEP_1) | instskip(SKIP_1) | instid1(VALU_DEP_2)
	v_add_f64_e64 v[42:43], v[40:41], -v[24:25]
	v_add_f64_e32 v[46:47], v[6:7], v[40:41]
	v_add_f64_e64 v[44:45], v[40:41], -v[42:43]
	v_add_f64_e64 v[38:39], v[38:39], -v[42:43]
	s_delay_alu instid0(VALU_DEP_3) | instskip(NEXT) | instid1(VALU_DEP_3)
	v_ldexp_f64 v[42:43], v[46:47], -2
	v_add_f64_e64 v[24:25], v[24:25], -v[44:45]
	v_add_f64_e32 v[44:45], v[48:49], v[50:51]
	s_delay_alu instid0(VALU_DEP_3) | instskip(NEXT) | instid1(VALU_DEP_3)
	v_cmp_neq_f64_e64 vcc_lo, 0x7ff00000, |v[42:43]|
	v_add_f64_e32 v[24:25], v[38:39], v[24:25]
	v_fract_f64_e32 v[38:39], v[42:43]
	s_delay_alu instid0(VALU_DEP_1) | instskip(NEXT) | instid1(VALU_DEP_1)
	v_ldexp_f64 v[38:39], v[38:39], 2
	v_cndmask_b32_e32 v38, 0, v38, vcc_lo
	v_add_f64_e64 v[6:7], v[46:47], -v[6:7]
	s_delay_alu instid0(VALU_DEP_3) | instskip(NEXT) | instid1(VALU_DEP_2)
	v_cndmask_b32_e32 v39, 0, v39, vcc_lo
	v_add_f64_e64 v[6:7], v[40:41], -v[6:7]
	v_add_f64_e32 v[40:41], v[44:45], v[24:25]
	s_delay_alu instid0(VALU_DEP_1) | instskip(SKIP_1) | instid1(VALU_DEP_2)
	v_add_f64_e32 v[42:43], v[6:7], v[40:41]
	v_add_f64_e64 v[52:53], v[40:41], -v[44:45]
	v_add_f64_e32 v[46:47], v[42:43], v[38:39]
	s_delay_alu instid0(VALU_DEP_2) | instskip(SKIP_2) | instid1(VALU_DEP_4)
	v_add_f64_e64 v[58:59], v[40:41], -v[52:53]
	v_add_f64_e64 v[24:25], v[24:25], -v[52:53]
	;; [unrolled: 1-line block ×3, first 2 shown]
	v_cmp_gt_f64_e32 vcc_lo, 0, v[46:47]
	v_add_f64_e64 v[46:47], v[44:45], -v[48:49]
	s_delay_alu instid0(VALU_DEP_3) | instskip(SKIP_1) | instid1(VALU_DEP_3)
	v_add_f64_e64 v[6:7], v[40:41], -v[6:7]
	v_cndmask_b32_e64 v27, 0, 0x40100000, vcc_lo
	v_add_f64_e64 v[56:57], v[44:45], -v[46:47]
	v_add_f64_e64 v[46:47], v[50:51], -v[46:47]
	;; [unrolled: 1-line block ×3, first 2 shown]
	s_delay_alu instid0(VALU_DEP_4) | instskip(NEXT) | instid1(VALU_DEP_4)
	v_add_f64_e32 v[38:39], v[38:39], v[26:27]
	v_add_f64_e64 v[50:51], v[48:49], -v[56:57]
	s_delay_alu instid0(VALU_DEP_3) | instskip(NEXT) | instid1(VALU_DEP_3)
	v_add_f64_e32 v[24:25], v[24:25], v[44:45]
	v_add_f64_e32 v[54:55], v[42:43], v[38:39]
	s_delay_alu instid0(VALU_DEP_3) | instskip(NEXT) | instid1(VALU_DEP_2)
	v_add_f64_e32 v[46:47], v[46:47], v[50:51]
	v_cvt_i32_f64_e32 v0, v[54:55]
	s_delay_alu instid0(VALU_DEP_2) | instskip(NEXT) | instid1(VALU_DEP_2)
	v_add_f64_e32 v[24:25], v[46:47], v[24:25]
	v_cvt_f64_i32_e32 v[52:53], v0
	s_delay_alu instid0(VALU_DEP_2) | instskip(NEXT) | instid1(VALU_DEP_2)
	v_add_f64_e32 v[2:3], v[2:3], v[24:25]
	v_add_f64_e64 v[38:39], v[38:39], -v[52:53]
	s_delay_alu instid0(VALU_DEP_2) | instskip(NEXT) | instid1(VALU_DEP_2)
	v_add_f64_e32 v[2:3], v[6:7], v[2:3]
	v_add_f64_e32 v[44:45], v[42:43], v[38:39]
	s_delay_alu instid0(VALU_DEP_1) | instskip(SKIP_1) | instid1(VALU_DEP_2)
	v_add_f64_e64 v[24:25], v[44:45], -v[38:39]
	v_cmp_le_f64_e32 vcc_lo, 0.5, v[44:45]
	v_add_f64_e64 v[6:7], v[42:43], -v[24:25]
	v_cndmask_b32_e64 v27, 0, 0x3ff00000, vcc_lo
	v_add_co_ci_u32_e64 v0, null, 0, v0, vcc_lo
	s_delay_alu instid0(VALU_DEP_3) | instskip(NEXT) | instid1(VALU_DEP_3)
	v_add_f64_e32 v[2:3], v[2:3], v[6:7]
	v_add_f64_e64 v[6:7], v[44:45], -v[26:27]
	s_delay_alu instid0(VALU_DEP_1) | instskip(NEXT) | instid1(VALU_DEP_1)
	v_add_f64_e32 v[24:25], v[6:7], v[2:3]
	v_mul_f64_e32 v[38:39], 0x3ff921fb54442d18, v[24:25]
	v_add_f64_e64 v[6:7], v[24:25], -v[6:7]
	s_delay_alu instid0(VALU_DEP_2) | instskip(NEXT) | instid1(VALU_DEP_2)
	v_fma_f64 v[40:41], v[24:25], s[10:11], -v[38:39]
	v_add_f64_e64 v[2:3], v[2:3], -v[6:7]
	s_delay_alu instid0(VALU_DEP_2) | instskip(NEXT) | instid1(VALU_DEP_1)
	v_fmac_f64_e32 v[40:41], 0x3c91a62633145c07, v[24:25]
	v_fmac_f64_e32 v[40:41], 0x3ff921fb54442d18, v[2:3]
	s_delay_alu instid0(VALU_DEP_1) | instskip(NEXT) | instid1(VALU_DEP_1)
	v_add_f64_e32 v[2:3], v[38:39], v[40:41]
	v_add_f64_e64 v[6:7], v[2:3], -v[38:39]
	s_delay_alu instid0(VALU_DEP_1)
	v_add_f64_e64 v[6:7], v[40:41], -v[6:7]
.LBB0_80:                               ;   in Loop: Header=BB0_78 Depth=1
	s_or_saveexec_b32 s1, s1
	v_mul_f64_e64 v[24:25], |v[10:11]|, s[12:13]
	scratch_store_b64 off, v[10:11], off    ; 8-byte Folded Spill
	v_rndne_f64_e32 v[40:41], v[24:25]
	s_wait_xcnt 0x0
	s_xor_b32 exec_lo, exec_lo, s1
	s_cbranch_execz .LBB0_82
; %bb.81:                               ;   in Loop: Header=BB0_78 Depth=1
	scratch_load_b64 v[2:3], off, off       ; 8-byte Folded Reload
	v_mul_f64_e32 v[6:7], 0xbc91a62633145c00, v[40:41]
	v_cvt_i32_f64_e32 v0, v[40:41]
	s_wait_loadcnt 0x0
	v_fma_f64 v[2:3], v[40:41], s[14:15], |v[2:3]|
	s_delay_alu instid0(VALU_DEP_1) | instskip(SKIP_1) | instid1(VALU_DEP_2)
	v_add_f64_e32 v[24:25], v[2:3], v[6:7]
	v_fmamk_f64 v[42:43], v[40:41], 0xbc91a62633145c00, v[2:3]
	v_add_f64_e64 v[38:39], v[2:3], -v[24:25]
	s_delay_alu instid0(VALU_DEP_2) | instskip(NEXT) | instid1(VALU_DEP_2)
	v_add_f64_e64 v[2:3], v[24:25], -v[42:43]
	v_add_f64_e32 v[24:25], v[38:39], v[6:7]
	v_fmamk_f64 v[6:7], v[40:41], 0x3c91a62633145c00, v[6:7]
	s_delay_alu instid0(VALU_DEP_2) | instskip(NEXT) | instid1(VALU_DEP_1)
	v_add_f64_e32 v[2:3], v[2:3], v[24:25]
	v_add_f64_e64 v[6:7], v[2:3], -v[6:7]
	s_delay_alu instid0(VALU_DEP_1) | instskip(NEXT) | instid1(VALU_DEP_1)
	v_fmac_f64_e32 v[6:7], 0xb97b839a252049c0, v[40:41]
	v_add_f64_e32 v[2:3], v[42:43], v[6:7]
	s_delay_alu instid0(VALU_DEP_1) | instskip(NEXT) | instid1(VALU_DEP_1)
	v_add_f64_e64 v[24:25], v[2:3], -v[42:43]
	v_add_f64_e64 v[6:7], v[6:7], -v[24:25]
.LBB0_82:                               ;   in Loop: Header=BB0_78 Depth=1
	s_wait_xcnt 0x0
	s_or_b32 exec_lo, exec_lo, s1
                                        ; implicit-def: $vgpr42
                                        ; implicit-def: $vgpr24_vgpr25
                                        ; implicit-def: $vgpr38_vgpr39
	s_and_saveexec_b32 s1, s0
	s_delay_alu instid0(SALU_CYCLE_1)
	s_xor_b32 s0, exec_lo, s1
	s_cbranch_execz .LBB0_84
; %bb.83:                               ;   in Loop: Header=BB0_78 Depth=1
	scratch_load_b64 v[4:5], off, off       ; 8-byte Folded Reload
	s_wait_loadcnt 0x0
	v_cmp_le_f64_e64 vcc_lo, 0x7b000000, |v[4:5]|
	v_dual_cndmask_b32 v21, v1, v21 :: v_dual_cndmask_b32 v20, v4, v20
	s_delay_alu instid0(VALU_DEP_1) | instskip(SKIP_2) | instid1(VALU_DEP_3)
	v_mul_f64_e32 v[24:25], v[18:19], v[20:21]
	v_mul_f64_e32 v[38:39], v[16:17], v[20:21]
	;; [unrolled: 1-line block ×3, first 2 shown]
	v_fma_f64 v[18:19], v[18:19], v[20:21], -v[24:25]
	s_delay_alu instid0(VALU_DEP_3) | instskip(NEXT) | instid1(VALU_DEP_3)
	v_fma_f64 v[16:17], v[16:17], v[20:21], -v[38:39]
	v_fma_f64 v[14:15], v[14:15], v[20:21], -v[48:49]
	s_delay_alu instid0(VALU_DEP_3) | instskip(NEXT) | instid1(VALU_DEP_1)
	v_add_f64_e32 v[40:41], v[38:39], v[18:19]
	v_add_f64_e64 v[42:43], v[40:41], -v[38:39]
	v_add_f64_e32 v[46:47], v[24:25], v[40:41]
	s_delay_alu instid0(VALU_DEP_2) | instskip(SKIP_1) | instid1(VALU_DEP_3)
	v_add_f64_e64 v[44:45], v[40:41], -v[42:43]
	v_add_f64_e64 v[18:19], v[18:19], -v[42:43]
	v_ldexp_f64 v[42:43], v[46:47], -2
	s_delay_alu instid0(VALU_DEP_3) | instskip(SKIP_1) | instid1(VALU_DEP_3)
	v_add_f64_e64 v[38:39], v[38:39], -v[44:45]
	v_add_f64_e32 v[44:45], v[48:49], v[16:17]
	v_cmp_neq_f64_e64 vcc_lo, 0x7ff00000, |v[42:43]|
	s_delay_alu instid0(VALU_DEP_3) | instskip(SKIP_1) | instid1(VALU_DEP_1)
	v_add_f64_e32 v[18:19], v[18:19], v[38:39]
	v_fract_f64_e32 v[38:39], v[42:43]
	v_ldexp_f64 v[38:39], v[38:39], 2
	s_delay_alu instid0(VALU_DEP_1) | instskip(NEXT) | instid1(VALU_DEP_1)
	v_dual_add_f64 v[24:25], v[46:47], -v[24:25] :: v_dual_cndmask_b32 v39, 0, v39, vcc_lo
	v_dual_add_f64 v[24:25], v[40:41], -v[24:25] :: v_dual_cndmask_b32 v38, 0, v38, vcc_lo
	v_add_f64_e32 v[40:41], v[44:45], v[18:19]
	s_delay_alu instid0(VALU_DEP_1) | instskip(SKIP_1) | instid1(VALU_DEP_2)
	v_add_f64_e32 v[42:43], v[24:25], v[40:41]
	v_add_f64_e64 v[50:51], v[40:41], -v[44:45]
	v_add_f64_e32 v[46:47], v[42:43], v[38:39]
	s_delay_alu instid0(VALU_DEP_2) | instskip(SKIP_2) | instid1(VALU_DEP_4)
	v_add_f64_e64 v[56:57], v[40:41], -v[50:51]
	v_add_f64_e64 v[18:19], v[18:19], -v[50:51]
	;; [unrolled: 1-line block ×3, first 2 shown]
	v_cmp_gt_f64_e32 vcc_lo, 0, v[46:47]
	v_add_f64_e64 v[46:47], v[44:45], -v[48:49]
	s_delay_alu instid0(VALU_DEP_3) | instskip(SKIP_1) | instid1(VALU_DEP_3)
	v_add_f64_e64 v[20:21], v[40:41], -v[20:21]
                                        ; implicit-def: $vgpr40_vgpr41
	v_cndmask_b32_e64 v27, 0, 0x40100000, vcc_lo
	v_add_f64_e64 v[54:55], v[44:45], -v[46:47]
	v_add_f64_e64 v[16:17], v[16:17], -v[46:47]
	;; [unrolled: 1-line block ×3, first 2 shown]
	s_delay_alu instid0(VALU_DEP_4) | instskip(NEXT) | instid1(VALU_DEP_4)
	v_add_f64_e32 v[38:39], v[38:39], v[26:27]
	v_add_f64_e64 v[46:47], v[48:49], -v[54:55]
	s_delay_alu instid0(VALU_DEP_3) | instskip(NEXT) | instid1(VALU_DEP_3)
	v_add_f64_e32 v[18:19], v[18:19], v[44:45]
	v_add_f64_e32 v[52:53], v[42:43], v[38:39]
	s_delay_alu instid0(VALU_DEP_3) | instskip(NEXT) | instid1(VALU_DEP_2)
	v_add_f64_e32 v[16:17], v[16:17], v[46:47]
	v_cvt_i32_f64_e32 v1, v[52:53]
	s_delay_alu instid0(VALU_DEP_2) | instskip(NEXT) | instid1(VALU_DEP_2)
	v_add_f64_e32 v[16:17], v[16:17], v[18:19]
	v_cvt_f64_i32_e32 v[50:51], v1
	s_delay_alu instid0(VALU_DEP_2) | instskip(NEXT) | instid1(VALU_DEP_2)
	v_add_f64_e32 v[14:15], v[14:15], v[16:17]
	v_add_f64_e64 v[38:39], v[38:39], -v[50:51]
	s_delay_alu instid0(VALU_DEP_2) | instskip(NEXT) | instid1(VALU_DEP_2)
	v_add_f64_e32 v[14:15], v[20:21], v[14:15]
	v_add_f64_e32 v[18:19], v[42:43], v[38:39]
	s_delay_alu instid0(VALU_DEP_1) | instskip(SKIP_1) | instid1(VALU_DEP_2)
	v_add_f64_e64 v[16:17], v[18:19], -v[38:39]
	v_cmp_le_f64_e32 vcc_lo, 0.5, v[18:19]
	v_add_f64_e64 v[16:17], v[42:43], -v[16:17]
	v_cndmask_b32_e64 v27, 0, 0x3ff00000, vcc_lo
	v_add_co_ci_u32_e64 v42, null, 0, v1, vcc_lo
	s_delay_alu instid0(VALU_DEP_3) | instskip(NEXT) | instid1(VALU_DEP_3)
	v_add_f64_e32 v[14:15], v[14:15], v[16:17]
	v_add_f64_e64 v[16:17], v[18:19], -v[26:27]
	s_delay_alu instid0(VALU_DEP_1) | instskip(NEXT) | instid1(VALU_DEP_1)
	v_add_f64_e32 v[18:19], v[16:17], v[14:15]
	v_mul_f64_e32 v[20:21], 0x3ff921fb54442d18, v[18:19]
	v_add_f64_e64 v[16:17], v[18:19], -v[16:17]
	s_delay_alu instid0(VALU_DEP_2) | instskip(NEXT) | instid1(VALU_DEP_2)
	v_fma_f64 v[38:39], v[18:19], s[10:11], -v[20:21]
	v_add_f64_e64 v[14:15], v[14:15], -v[16:17]
	s_delay_alu instid0(VALU_DEP_2) | instskip(NEXT) | instid1(VALU_DEP_1)
	v_fmac_f64_e32 v[38:39], 0x3c91a62633145c07, v[18:19]
	v_fmac_f64_e32 v[38:39], 0x3ff921fb54442d18, v[14:15]
	s_delay_alu instid0(VALU_DEP_1) | instskip(NEXT) | instid1(VALU_DEP_1)
	v_add_f64_e32 v[24:25], v[20:21], v[38:39]
	v_add_f64_e64 v[14:15], v[24:25], -v[20:21]
	s_delay_alu instid0(VALU_DEP_1)
	v_add_f64_e64 v[38:39], v[38:39], -v[14:15]
	s_wait_xcnt 0x0
	s_and_not1_saveexec_b32 s0, s0
	s_cbranch_execnz .LBB0_85
	s_branch .LBB0_86
.LBB0_84:                               ;   in Loop: Header=BB0_78 Depth=1
	s_and_not1_saveexec_b32 s0, s0
	s_cbranch_execz .LBB0_86
.LBB0_85:                               ;   in Loop: Header=BB0_78 Depth=1
	scratch_load_b64 v[4:5], off, off       ; 8-byte Folded Reload
	v_mul_f64_e32 v[16:17], 0xbc91a62633145c00, v[40:41]
	v_cvt_i32_f64_e32 v42, v[40:41]
	s_wait_loadcnt 0x0
	v_fma_f64 v[14:15], v[40:41], s[14:15], |v[4:5]|
	s_delay_alu instid0(VALU_DEP_1) | instskip(NEXT) | instid1(VALU_DEP_1)
	v_add_f64_e32 v[18:19], v[14:15], v[16:17]
	v_add_f64_e64 v[20:21], v[14:15], -v[18:19]
	v_fmamk_f64 v[14:15], v[40:41], 0xbc91a62633145c00, v[14:15]
	s_delay_alu instid0(VALU_DEP_1) | instskip(NEXT) | instid1(VALU_DEP_3)
	v_add_f64_e64 v[18:19], v[18:19], -v[14:15]
	v_add_f64_e32 v[20:21], v[20:21], v[16:17]
	v_fmamk_f64 v[16:17], v[40:41], 0x3c91a62633145c00, v[16:17]
	s_delay_alu instid0(VALU_DEP_2) | instskip(NEXT) | instid1(VALU_DEP_1)
	v_add_f64_e32 v[18:19], v[18:19], v[20:21]
	v_add_f64_e64 v[16:17], v[18:19], -v[16:17]
	s_delay_alu instid0(VALU_DEP_1) | instskip(NEXT) | instid1(VALU_DEP_1)
	v_fmac_f64_e32 v[16:17], 0xb97b839a252049c0, v[40:41]
	v_add_f64_e32 v[24:25], v[14:15], v[16:17]
	s_delay_alu instid0(VALU_DEP_1) | instskip(NEXT) | instid1(VALU_DEP_1)
	v_add_f64_e64 v[14:15], v[24:25], -v[14:15]
	v_add_f64_e64 v[38:39], v[16:17], -v[14:15]
.LBB0_86:                               ;   in Loop: Header=BB0_78 Depth=1
	s_wait_xcnt 0x0
	s_or_b32 exec_lo, exec_lo, s0
	v_dual_mul_f64 v[14:15], v[2:3], v[2:3] :: v_dual_bitop2_b32 v1, 1, v0 bitop3:0x40
	scratch_load_b64 v[10:11], off, off     ; 8-byte Folded Reload
	v_dual_mul_f64 v[46:47], 0.5, v[6:7] :: v_dual_lshlrev_b32 v0, 30, v0
	v_mul_f64_e32 v[54:55], 0.5, v[38:39]
	v_cmp_eq_u32_e64 s0, 0, v1
	v_dual_mul_f64 v[16:17], v[24:25], v[24:25] :: v_dual_bitop2_b32 v4, 1, v42 bitop3:0x40
	scratch_store_b64 off, v[62:63], off offset:24 ; 8-byte Folded Spill
	v_cmp_eq_u32_e32 vcc_lo, 0, v4
	v_lshlrev_b32_e32 v4, 30, v42
	v_mul_f64_e32 v[18:19], 0.5, v[14:15]
	v_mul_f64_e64 v[48:49], v[2:3], -v[14:15]
	v_fmamk_f64 v[52:53], v[14:15], 0x3de5e0b2f9a43bb8, v[126:127]
	v_mul_f64_e32 v[20:21], 0.5, v[16:17]
	v_mul_f64_e64 v[56:57], v[24:25], -v[16:17]
	v_fmamk_f64 v[58:59], v[16:17], 0x3de5e0b2f9a43bb8, v[126:127]
	s_delay_alu instid0(VALU_DEP_4) | instskip(NEXT) | instid1(VALU_DEP_2)
	v_fmaak_f64 v[52:53], v[14:15], v[52:53], 0x3ec71de3796cde01
	v_fmaak_f64 v[58:59], v[16:17], v[58:59], 0x3ec71de3796cde01
	s_delay_alu instid0(VALU_DEP_2) | instskip(NEXT) | instid1(VALU_DEP_1)
	v_fmaak_f64 v[52:53], v[14:15], v[52:53], 0xbf2a01a019e83e5c
	v_fmaak_f64 v[52:53], v[14:15], v[52:53], 0x3f81111111110bb3
	v_add_f64_e64 v[40:41], -v[18:19], 1.0
	s_delay_alu instid0(VALU_DEP_2) | instskip(SKIP_2) | instid1(VALU_DEP_4)
	v_fmac_f64_e32 v[46:47], v[48:49], v[52:53]
	v_mul_f64_e32 v[52:53], v[14:15], v[14:15]
	v_add_f64_e64 v[44:45], -v[20:21], 1.0
	v_add_f64_e64 v[50:51], -v[40:41], 1.0
	s_delay_alu instid0(VALU_DEP_4) | instskip(NEXT) | instid1(VALU_DEP_3)
	v_fma_f64 v[46:47], v[14:15], v[46:47], -v[6:7]
	v_add_f64_e64 v[60:61], -v[44:45], 1.0
	s_delay_alu instid0(VALU_DEP_3) | instskip(SKIP_1) | instid1(VALU_DEP_4)
	v_add_f64_e64 v[18:19], v[50:51], -v[18:19]
	v_fmaak_f64 v[50:51], v[16:17], v[58:59], 0xbf2a01a019e83e5c
	v_fmac_f64_e32 v[46:47], 0xbfc5555555555555, v[48:49]
	s_delay_alu instid0(VALU_DEP_4) | instskip(NEXT) | instid1(VALU_DEP_3)
	v_add_f64_e64 v[20:21], v[60:61], -v[20:21]
	v_fmaak_f64 v[50:51], v[16:17], v[50:51], 0x3f81111111110bb3
	s_delay_alu instid0(VALU_DEP_1) | instskip(SKIP_2) | instid1(VALU_DEP_2)
	v_fmac_f64_e32 v[54:55], v[56:57], v[50:51]
	v_fmamk_f64 v[50:51], v[14:15], 0xbda907db46cc5e42, v[64:65]
	v_fma_f64 v[6:7], v[2:3], -v[6:7], v[18:19]
	v_fmaak_f64 v[18:19], v[14:15], v[50:51], 0xbe927e4fa17f65f6
	v_fma_f64 v[20:21], v[24:25], -v[38:39], v[20:21]
	s_delay_alu instid0(VALU_DEP_2) | instskip(SKIP_1) | instid1(VALU_DEP_2)
	v_fmaak_f64 v[18:19], v[14:15], v[18:19], 0x3efa01a019f4ec90
	v_fma_f64 v[50:51], v[16:17], v[54:55], -v[38:39]
	v_fmaak_f64 v[18:19], v[14:15], v[18:19], 0xbf56c16c16c16967
	v_add_f64_e64 v[38:39], v[2:3], -v[46:47]
	s_delay_alu instid0(VALU_DEP_2) | instskip(NEXT) | instid1(VALU_DEP_1)
	v_fmaak_f64 v[14:15], v[14:15], v[18:19], 0x3fa5555555555555
	v_fmac_f64_e32 v[6:7], v[52:53], v[14:15]
	v_fmac_f64_e32 v[50:51], 0xbfc5555555555555, v[56:57]
	s_delay_alu instid0(VALU_DEP_2) | instskip(NEXT) | instid1(VALU_DEP_2)
	v_add_f64_e32 v[6:7], v[40:41], v[6:7]
	v_add_f64_e64 v[2:3], v[24:25], -v[50:51]
	s_delay_alu instid0(VALU_DEP_2) | instskip(SKIP_1) | instid1(VALU_DEP_1)
	v_cndmask_b32_e64 v1, v6, v38, s0
	v_fmamk_f64 v[54:55], v[16:17], 0xbda907db46cc5e42, v[64:65]
	v_fmaak_f64 v[18:19], v[16:17], v[54:55], 0xbe927e4fa17f65f6
	s_delay_alu instid0(VALU_DEP_4) | instskip(SKIP_1) | instid1(VALU_DEP_3)
	v_xor_b32_e32 v3, 0x80000000, v3
	v_mul_f64_e32 v[58:59], v[16:17], v[16:17]
	v_fmaak_f64 v[14:15], v[16:17], v[18:19], 0x3efa01a019f4ec90
	s_delay_alu instid0(VALU_DEP_1) | instskip(NEXT) | instid1(VALU_DEP_1)
	v_fmaak_f64 v[14:15], v[16:17], v[14:15], 0xbf56c16c16c16967
	v_fmaak_f64 v[14:15], v[16:17], v[14:15], 0x3fa5555555555555
	s_delay_alu instid0(VALU_DEP_1) | instskip(NEXT) | instid1(VALU_DEP_1)
	v_fmac_f64_e32 v[20:21], v[58:59], v[14:15]
	v_add_f64_e32 v[14:15], v[44:45], v[20:21]
	s_delay_alu instid0(VALU_DEP_1) | instskip(SKIP_1) | instid1(VALU_DEP_2)
	v_dual_cndmask_b32 v3, v3, v15 :: v_dual_cndmask_b32 v2, v2, v14
	v_add_f64_e32 v[14:15], v[36:37], v[36:37]
	v_bitop3_b32 v3, v3, v4, 0x80000000 bitop3:0x78
	scratch_load_b64 v[4:5], off, off offset:8 ; 8-byte Folded Reload
	s_wait_loadcnt 0x1
	v_cmp_class_f64_e64 s1, v[10:11], 0x1f8
	s_delay_alu instid0(VALU_DEP_1) | instskip(SKIP_3) | instid1(VALU_DEP_3)
	v_dual_cndmask_b32 v2, 0, v2, s1 :: v_dual_bitop2_b32 v0, v0, v11 bitop3:0x14
	v_cndmask_b32_e64 v3, 0x7ff80000, v3, s1
	v_dual_cndmask_b32 v6, 0, v1, s1 :: v_dual_cndmask_b32 v1, v7, v39, s0
	v_fma_f64 v[18:19], v[36:37], v[36:37], -v[14:15]
	v_mul_f64_e32 v[16:17], v[2:3], v[2:3]
	s_delay_alu instid0(VALU_DEP_3) | instskip(NEXT) | instid1(VALU_DEP_1)
	v_bitop3_b32 v0, v1, v0, 0x80000000 bitop3:0x78
	v_cndmask_b32_e64 v7, 0x7ff80000, v0, s1
	s_delay_alu instid0(VALU_DEP_1) | instskip(SKIP_3) | instid1(VALU_DEP_3)
	v_mul_f64_e32 v[0:1], v[6:7], v[6:7]
	v_cmp_gt_f64_e64 s0, s[16:17], v[6:7]
	v_mul_f64_e32 v[20:21], v[8:9], v[16:17]
	v_add_f64_e32 v[16:17], v[8:9], v[18:19]
	v_cndmask_b32_e64 v1, v1, 0x3c9cd2b2, s0
	v_cndmask_b32_e64 v0, v0, 0x97d889bc, s0
	;; [unrolled: 1-line block ×4, first 2 shown]
	s_delay_alu instid0(VALU_DEP_1) | instskip(SKIP_1) | instid1(VALU_DEP_1)
	v_mul_f64_e64 v[2:3], -v[6:7], v[2:3]
	v_fmac_f64_e32 v[20:21], v[36:37], v[36:37]
	v_mul_f64_e32 v[18:19], v[16:17], v[20:21]
	v_div_scale_f64 v[40:41], null, v[20:21], v[20:21], 1.0
	v_mul_f64_e64 v[16:17], v[16:17], -v[28:29]
	s_delay_alu instid0(VALU_DEP_3) | instskip(NEXT) | instid1(VALU_DEP_3)
	v_div_scale_f64 v[24:25], null, v[18:19], v[18:19], 1.0
	v_rcp_f64_e32 v[44:45], v[40:41]
	v_div_scale_f64 v[50:51], vcc_lo, 1.0, v[18:19], 1.0
	s_delay_alu instid0(VALU_DEP_2) | instskip(NEXT) | instid1(TRANS32_DEP_2)
	v_rcp_f64_e32 v[42:43], v[24:25]
	v_fma_f64 v[48:49], -v[40:41], v[44:45], 1.0
	s_delay_alu instid0(TRANS32_DEP_1) | instskip(NEXT) | instid1(VALU_DEP_2)
	v_fma_f64 v[46:47], -v[24:25], v[42:43], 1.0
	v_fmac_f64_e32 v[44:45], v[44:45], v[48:49]
	s_delay_alu instid0(VALU_DEP_2) | instskip(NEXT) | instid1(VALU_DEP_2)
	v_fmac_f64_e32 v[42:43], v[42:43], v[46:47]
	v_fma_f64 v[48:49], -v[40:41], v[44:45], 1.0
	s_delay_alu instid0(VALU_DEP_2) | instskip(NEXT) | instid1(VALU_DEP_2)
	v_fma_f64 v[46:47], -v[24:25], v[42:43], 1.0
	v_fmac_f64_e32 v[44:45], v[44:45], v[48:49]
	s_delay_alu instid0(VALU_DEP_2) | instskip(SKIP_1) | instid1(VALU_DEP_2)
	v_fmac_f64_e32 v[42:43], v[42:43], v[46:47]
	v_div_scale_f64 v[46:47], s2, 1.0, v[20:21], 1.0
	v_mul_f64_e32 v[48:49], v[50:51], v[42:43]
	s_delay_alu instid0(VALU_DEP_2) | instskip(NEXT) | instid1(VALU_DEP_2)
	v_mul_f64_e32 v[52:53], v[46:47], v[44:45]
	v_fma_f64 v[24:25], -v[24:25], v[48:49], v[50:51]
	s_delay_alu instid0(VALU_DEP_2) | instskip(NEXT) | instid1(VALU_DEP_2)
	v_fma_f64 v[40:41], -v[40:41], v[52:53], v[46:47]
	v_div_fmas_f64 v[24:25], v[24:25], v[42:43], v[48:49]
	s_mov_b32 vcc_lo, s2
	s_mov_b32 s2, 0
	s_delay_alu instid0(VALU_DEP_2) | instskip(NEXT) | instid1(VALU_DEP_2)
	v_div_fmas_f64 v[40:41], v[40:41], v[44:45], v[52:53]
	v_div_fixup_f64 v[18:19], v[24:25], v[18:19], 1.0
	s_delay_alu instid0(VALU_DEP_2) | instskip(SKIP_2) | instid1(VALU_DEP_2)
	v_div_fixup_f64 v[38:39], v[40:41], v[20:21], 1.0
	v_fmac_f64_e32 v[20:21], -2.0, v[36:37]
	v_mul_f64_e32 v[40:41], v[0:1], v[0:1]
	v_mul_f64_e32 v[20:21], v[32:33], v[20:21]
	s_delay_alu instid0(VALU_DEP_2) | instskip(NEXT) | instid1(VALU_DEP_2)
	v_div_scale_f64 v[44:45], null, v[40:41], v[40:41], v[34:35]
	v_div_scale_f64 v[42:43], null, v[0:1], v[0:1], v[20:21]
	s_delay_alu instid0(VALU_DEP_2) | instskip(SKIP_1) | instid1(VALU_DEP_2)
	v_rcp_f64_e32 v[48:49], v[44:45]
	v_div_scale_f64 v[54:55], vcc_lo, v[20:21], v[0:1], v[20:21]
	v_rcp_f64_e32 v[46:47], v[42:43]
	s_delay_alu instid0(TRANS32_DEP_2) | instskip(NEXT) | instid1(TRANS32_DEP_1)
	v_fma_f64 v[52:53], -v[44:45], v[48:49], 1.0
	v_fma_f64 v[50:51], -v[42:43], v[46:47], 1.0
	s_delay_alu instid0(VALU_DEP_2) | instskip(NEXT) | instid1(VALU_DEP_2)
	v_fmac_f64_e32 v[48:49], v[48:49], v[52:53]
	v_fmac_f64_e32 v[46:47], v[46:47], v[50:51]
	s_delay_alu instid0(VALU_DEP_2) | instskip(NEXT) | instid1(VALU_DEP_2)
	v_fma_f64 v[52:53], -v[44:45], v[48:49], 1.0
	v_fma_f64 v[50:51], -v[42:43], v[46:47], 1.0
	s_delay_alu instid0(VALU_DEP_2) | instskip(NEXT) | instid1(VALU_DEP_2)
	v_fmac_f64_e32 v[48:49], v[48:49], v[52:53]
	v_fmac_f64_e32 v[46:47], v[46:47], v[50:51]
	v_div_scale_f64 v[50:51], s1, v[34:35], v[40:41], v[34:35]
	s_delay_alu instid0(VALU_DEP_2) | instskip(NEXT) | instid1(VALU_DEP_2)
	v_mul_f64_e32 v[52:53], v[54:55], v[46:47]
	v_mul_f64_e32 v[56:57], v[50:51], v[48:49]
	s_delay_alu instid0(VALU_DEP_2) | instskip(NEXT) | instid1(VALU_DEP_2)
	v_fma_f64 v[42:43], -v[42:43], v[52:53], v[54:55]
	v_fma_f64 v[44:45], -v[44:45], v[56:57], v[50:51]
	v_fma_f64 v[50:51], v[36:37], v[36:37], v[8:9]
	v_add_f64_e32 v[54:55], v[28:29], v[28:29]
	s_delay_alu instid0(VALU_DEP_4) | instskip(SKIP_1) | instid1(VALU_DEP_3)
	v_div_fmas_f64 v[42:43], v[42:43], v[46:47], v[52:53]
	s_mov_b32 vcc_lo, s1
	v_mul_f64_e32 v[46:47], v[14:15], v[50:51]
	v_div_fmas_f64 v[44:45], v[44:45], v[48:49], v[56:57]
	v_add_f64_e32 v[48:49], -1.0, v[36:37]
	v_mul_f64_e32 v[50:51], v[28:29], v[54:55]
	v_div_fixup_f64 v[0:1], v[42:43], v[0:1], v[20:21]
	s_delay_alu instid0(VALU_DEP_4) | instskip(SKIP_1) | instid1(VALU_DEP_4)
	v_div_fixup_f64 v[40:41], v[44:45], v[40:41], v[34:35]
	s_wait_loadcnt 0x0
	v_fma_f64 v[20:21], -v[4:5], v[48:49], v[46:47]
	v_mul_f64_e32 v[4:5], v[16:17], v[38:39]
	v_mul_f64_e32 v[44:45], s[8:9], v[14:15]
	;; [unrolled: 1-line block ×3, first 2 shown]
	v_fmac_f64_e32 v[0:1], s[8:9], v[14:15]
	v_add_f64_e64 v[6:7], v[40:41], -v[8:9]
	v_add_f64_e64 v[20:21], v[20:21], -v[66:67]
	scratch_store_b64 off, v[4:5], off offset:16 ; 8-byte Folded Spill
	v_fma_f64 v[14:15], -v[32:33], v[44:45], v[46:47]
	v_mul_f64_e32 v[24:25], v[42:43], v[38:39]
	v_mul_f64_e64 v[12:13], v[18:19], -v[0:1]
	v_mul_f64_e32 v[0:1], v[22:23], v[4:5]
	scratch_load_b64 v[4:5], off, off offset:128 ; 8-byte Folded Reload
	v_mul_f64_e32 v[2:3], v[6:7], v[2:3]
	v_mul_f64_e64 v[6:7], v[38:39], -v[62:63]
	v_fma_f64 v[14:15], v[14:15], v[18:19], 1.0
	v_fma_f64 v[16:17], v[20:21], v[18:19], -v[24:25]
	scratch_store_b64 off, v[12:13], off offset:40 ; 8-byte Folded Spill
	v_add_f64_e64 v[0:1], |v[36:37]|, |v[0:1]|
	v_mul_f64_e32 v[18:19], v[2:3], v[38:39]
	scratch_store_b64 off, v[6:7], off offset:32 ; 8-byte Folded Spill
	v_mul_f64_e32 v[2:3], v[22:23], v[6:7]
	s_wait_xcnt 0x0
	v_mul_f64_e32 v[6:7], v[22:23], v[12:13]
	s_clause 0x1
	scratch_store_b64 off, v[14:15], off offset:48
	scratch_store_b64 off, v[16:17], off offset:56
	s_wait_xcnt 0x1
	v_mul_f64_e64 v[14:15], v[22:23], -v[14:15]
	s_wait_xcnt 0x0
	v_mul_f64_e64 v[16:17], v[22:23], -v[16:17]
	v_add_f64_e32 v[0:1], 0x3f50624dd2f1a9fc, v[0:1]
	scratch_store_b64 off, v[18:19], off offset:64 ; 8-byte Folded Spill
	s_wait_xcnt 0x0
	v_mul_f64_e32 v[18:19], v[22:23], v[18:19]
	v_add_f64_e64 v[2:3], |v[10:11]|, |v[2:3]|
	v_add_f64_e64 v[16:17], |v[28:29]|, |v[16:17]|
	scratch_store_b64 off, v[0:1], off offset:72 ; 8-byte Folded Spill
	v_add_f64_e64 v[18:19], |v[62:63]|, |v[18:19]|
	s_wait_xcnt 0x0
	v_add_f64_e32 v[0:1], 0x3f50624dd2f1a9fc, v[2:3]
	scratch_store_b64 off, v[0:1], off offset:80 ; 8-byte Folded Spill
	s_wait_loadcnt 0x0
	v_add_f64_e64 v[6:7], |v[4:5]|, |v[6:7]|
	scratch_load_b64 v[4:5], off, off offset:136 ; 8-byte Folded Reload
	s_wait_xcnt 0x1
	v_add_f64_e32 v[0:1], 0x3f50624dd2f1a9fc, v[6:7]
	scratch_store_b64 off, v[0:1], off offset:88 ; 8-byte Folded Spill
	s_wait_loadcnt 0x0
	v_add_f64_e64 v[14:15], |v[4:5]|, |v[14:15]|
	s_wait_xcnt 0x0
	s_delay_alu instid0(VALU_DEP_1)
	v_add_f64_e32 v[0:1], 0x3f50624dd2f1a9fc, v[14:15]
	scratch_store_b64 off, v[0:1], off offset:96 ; 8-byte Folded Spill
	s_wait_xcnt 0x0
	v_add_f64_e32 v[0:1], 0x3f50624dd2f1a9fc, v[16:17]
	scratch_store_b64 off, v[0:1], off offset:104 ; 8-byte Folded Spill
	s_wait_xcnt 0x0
	v_add_f64_e32 v[0:1], 0x3f50624dd2f1a9fc, v[18:19]
	scratch_store_b64 off, v[0:1], off offset:112 ; 8-byte Folded Spill
	s_branch .LBB0_90
.LBB0_87:                               ;   in Loop: Header=BB0_90 Depth=2
	s_or_b32 exec_lo, exec_lo, s24
.LBB0_88:                               ;   in Loop: Header=BB0_90 Depth=2
	s_delay_alu instid0(SALU_CYCLE_1) | instskip(NEXT) | instid1(SALU_CYCLE_1)
	s_or_b32 exec_lo, exec_lo, s1
	s_xor_b32 s1, exec_lo, -1
.LBB0_89:                               ;   in Loop: Header=BB0_90 Depth=2
	s_or_b32 exec_lo, exec_lo, s0
	s_delay_alu instid0(SALU_CYCLE_1) | instskip(NEXT) | instid1(SALU_CYCLE_1)
	s_and_b32 s0, exec_lo, s1
	s_or_b32 s2, s0, s2
	s_delay_alu instid0(SALU_CYCLE_1)
	s_and_not1_b32 exec_lo, exec_lo, s2
	s_cbranch_execz .LBB0_138
.LBB0_90:                               ;   Parent Loop BB0_78 Depth=1
                                        ; =>  This Inner Loop Header: Depth=2
	scratch_load_b64 v[0:1], off, off offset:32 ; 8-byte Folded Reload
	v_mov_b64_e32 v[44:45], v[22:23]
                                        ; implicit-def: $vgpr40_vgpr41
                                        ; implicit-def: $vgpr46_vgpr47
	s_wait_loadcnt 0x0
	s_delay_alu instid0(VALU_DEP_1) | instskip(SKIP_3) | instid1(VALU_DEP_1)
	v_mul_f64_e32 v[42:43], v[0:1], v[44:45]
	scratch_load_b64 v[0:1], off, off       ; 8-byte Folded Reload
	s_wait_loadcnt 0x0
	v_fmamk_f64 v[24:25], v[42:43], 0x3fc999999999999a, v[0:1]
                                        ; implicit-def: $vgpr1
	v_cmp_ngt_f64_e64 s0, 0x41d00000, |v[24:25]|
	v_trig_preop_f64 v[14:15], |v[24:25]|, 0
	v_trig_preop_f64 v[6:7], |v[24:25]|, 1
	v_ldexp_f64 v[16:17], |v[24:25]|, 0xffffff80
	v_trig_preop_f64 v[2:3], |v[24:25]|, 2
	v_and_b32_e32 v0, 0x7fffffff, v25
	s_wait_xcnt 0x0
	s_and_saveexec_b32 s1, s0
	s_delay_alu instid0(SALU_CYCLE_1)
	s_xor_b32 s1, exec_lo, s1
	s_cbranch_execz .LBB0_92
; %bb.91:                               ;   in Loop: Header=BB0_90 Depth=2
	v_cmp_le_f64_e64 vcc_lo, 0x7b000000, |v[24:25]|
	s_delay_alu instid0(VALU_DEP_4) | instskip(SKIP_1) | instid1(VALU_DEP_1)
	v_cndmask_b32_e32 v19, v0, v17, vcc_lo
	v_cndmask_b32_e32 v18, v24, v16, vcc_lo
	v_mul_f64_e32 v[20:21], v[14:15], v[18:19]
	v_mul_f64_e32 v[22:23], v[6:7], v[18:19]
	s_delay_alu instid0(VALU_DEP_2) | instskip(NEXT) | instid1(VALU_DEP_1)
	v_fma_f64 v[38:39], v[14:15], v[18:19], -v[20:21]
	v_add_f64_e32 v[40:41], v[22:23], v[38:39]
	s_delay_alu instid0(VALU_DEP_1) | instskip(SKIP_1) | instid1(VALU_DEP_2)
	v_add_f64_e64 v[46:47], v[40:41], -v[22:23]
	v_add_f64_e32 v[50:51], v[20:21], v[40:41]
	v_add_f64_e64 v[48:49], v[40:41], -v[46:47]
	v_add_f64_e64 v[38:39], v[38:39], -v[46:47]
	s_delay_alu instid0(VALU_DEP_3) | instskip(SKIP_2) | instid1(VALU_DEP_3)
	v_ldexp_f64 v[46:47], v[50:51], -2
	v_fma_f64 v[54:55], v[6:7], v[18:19], -v[22:23]
	v_mul_f64_e32 v[52:53], v[2:3], v[18:19]
	v_cmp_neq_f64_e64 vcc_lo, 0x7ff00000, |v[46:47]|
	v_add_f64_e64 v[22:23], v[22:23], -v[48:49]
	s_delay_alu instid0(VALU_DEP_3) | instskip(SKIP_1) | instid1(VALU_DEP_3)
	v_add_f64_e32 v[48:49], v[52:53], v[54:55]
	v_fma_f64 v[18:19], v[2:3], v[18:19], -v[52:53]
	v_add_f64_e32 v[22:23], v[38:39], v[22:23]
	v_fract_f64_e32 v[38:39], v[46:47]
	s_delay_alu instid0(VALU_DEP_1) | instskip(NEXT) | instid1(VALU_DEP_1)
	v_ldexp_f64 v[38:39], v[38:39], 2
	v_dual_add_f64 v[20:21], v[50:51], -v[20:21] :: v_dual_cndmask_b32 v39, 0, v39, vcc_lo
	s_delay_alu instid0(VALU_DEP_1) | instskip(SKIP_1) | instid1(VALU_DEP_1)
	v_dual_add_f64 v[20:21], v[40:41], -v[20:21] :: v_dual_cndmask_b32 v38, 0, v38, vcc_lo
	v_add_f64_e32 v[40:41], v[48:49], v[22:23]
	v_add_f64_e32 v[46:47], v[20:21], v[40:41]
	v_add_f64_e64 v[68:69], v[40:41], -v[48:49]
	s_delay_alu instid0(VALU_DEP_2) | instskip(NEXT) | instid1(VALU_DEP_2)
	v_add_f64_e32 v[50:51], v[46:47], v[38:39]
	v_add_f64_e64 v[74:75], v[40:41], -v[68:69]
	v_add_f64_e64 v[22:23], v[22:23], -v[68:69]
	;; [unrolled: 1-line block ×3, first 2 shown]
	s_delay_alu instid0(VALU_DEP_4) | instskip(SKIP_1) | instid1(VALU_DEP_3)
	v_cmp_gt_f64_e32 vcc_lo, 0, v[50:51]
	v_add_f64_e64 v[50:51], v[48:49], -v[52:53]
	v_add_f64_e64 v[20:21], v[40:41], -v[20:21]
	v_cndmask_b32_e64 v27, 0, 0x40100000, vcc_lo
	s_delay_alu instid0(VALU_DEP_3) | instskip(SKIP_2) | instid1(VALU_DEP_4)
	v_add_f64_e64 v[72:73], v[48:49], -v[50:51]
	v_add_f64_e64 v[50:51], v[54:55], -v[50:51]
	;; [unrolled: 1-line block ×3, first 2 shown]
	v_add_f64_e32 v[38:39], v[38:39], v[26:27]
	s_delay_alu instid0(VALU_DEP_4) | instskip(NEXT) | instid1(VALU_DEP_3)
	v_add_f64_e64 v[54:55], v[52:53], -v[72:73]
	v_add_f64_e32 v[22:23], v[22:23], v[48:49]
	s_delay_alu instid0(VALU_DEP_3) | instskip(NEXT) | instid1(VALU_DEP_3)
	v_add_f64_e32 v[70:71], v[46:47], v[38:39]
	v_add_f64_e32 v[50:51], v[50:51], v[54:55]
	s_delay_alu instid0(VALU_DEP_2) | instskip(NEXT) | instid1(VALU_DEP_2)
	v_cvt_i32_f64_e32 v1, v[70:71]
	v_add_f64_e32 v[22:23], v[50:51], v[22:23]
	s_delay_alu instid0(VALU_DEP_2) | instskip(NEXT) | instid1(VALU_DEP_2)
	v_cvt_f64_i32_e32 v[68:69], v1
	v_add_f64_e32 v[18:19], v[18:19], v[22:23]
	s_delay_alu instid0(VALU_DEP_2) | instskip(NEXT) | instid1(VALU_DEP_2)
	v_add_f64_e64 v[38:39], v[38:39], -v[68:69]
	v_add_f64_e32 v[18:19], v[20:21], v[18:19]
	s_delay_alu instid0(VALU_DEP_2) | instskip(NEXT) | instid1(VALU_DEP_1)
	v_add_f64_e32 v[48:49], v[46:47], v[38:39]
	v_add_f64_e64 v[22:23], v[48:49], -v[38:39]
	v_cmp_le_f64_e32 vcc_lo, 0.5, v[48:49]
	s_delay_alu instid0(VALU_DEP_2) | instskip(SKIP_2) | instid1(VALU_DEP_3)
	v_add_f64_e64 v[20:21], v[46:47], -v[22:23]
	v_cndmask_b32_e64 v27, 0, 0x3ff00000, vcc_lo
	v_add_co_ci_u32_e64 v1, null, 0, v1, vcc_lo
	v_add_f64_e32 v[18:19], v[18:19], v[20:21]
	s_delay_alu instid0(VALU_DEP_3) | instskip(NEXT) | instid1(VALU_DEP_1)
	v_add_f64_e64 v[20:21], v[48:49], -v[26:27]
	v_add_f64_e32 v[22:23], v[20:21], v[18:19]
	s_delay_alu instid0(VALU_DEP_1) | instskip(SKIP_1) | instid1(VALU_DEP_2)
	v_mul_f64_e32 v[38:39], 0x3ff921fb54442d18, v[22:23]
	v_add_f64_e64 v[20:21], v[22:23], -v[20:21]
	v_fma_f64 v[46:47], v[22:23], s[10:11], -v[38:39]
	s_delay_alu instid0(VALU_DEP_2) | instskip(NEXT) | instid1(VALU_DEP_2)
	v_add_f64_e64 v[18:19], v[18:19], -v[20:21]
	v_fmac_f64_e32 v[46:47], 0x3c91a62633145c07, v[22:23]
	s_delay_alu instid0(VALU_DEP_1) | instskip(NEXT) | instid1(VALU_DEP_1)
	v_fmac_f64_e32 v[46:47], 0x3ff921fb54442d18, v[18:19]
	v_add_f64_e32 v[40:41], v[38:39], v[46:47]
	s_delay_alu instid0(VALU_DEP_1) | instskip(NEXT) | instid1(VALU_DEP_1)
	v_add_f64_e64 v[18:19], v[40:41], -v[38:39]
	v_add_f64_e64 v[46:47], v[46:47], -v[18:19]
.LBB0_92:                               ;   in Loop: Header=BB0_90 Depth=2
	s_or_saveexec_b32 s1, s1
	v_mul_f64_e64 v[18:19], |v[24:25]|, s[12:13]
	s_delay_alu instid0(VALU_DEP_1)
	v_rndne_f64_e32 v[20:21], v[18:19]
	s_xor_b32 exec_lo, exec_lo, s1
	s_cbranch_execz .LBB0_94
; %bb.93:                               ;   in Loop: Header=BB0_90 Depth=2
	s_delay_alu instid0(VALU_DEP_1) | instskip(SKIP_2) | instid1(VALU_DEP_2)
	v_fma_f64 v[18:19], v[20:21], s[14:15], |v[24:25]|
	v_mul_f64_e32 v[22:23], 0xbc91a62633145c00, v[20:21]
	v_cvt_i32_f64_e32 v1, v[20:21]
	v_add_f64_e32 v[38:39], v[18:19], v[22:23]
	s_delay_alu instid0(VALU_DEP_1) | instskip(SKIP_1) | instid1(VALU_DEP_1)
	v_add_f64_e64 v[40:41], v[18:19], -v[38:39]
	v_fmamk_f64 v[18:19], v[20:21], 0xbc91a62633145c00, v[18:19]
	v_add_f64_e64 v[38:39], v[38:39], -v[18:19]
	s_delay_alu instid0(VALU_DEP_3) | instskip(SKIP_1) | instid1(VALU_DEP_2)
	v_add_f64_e32 v[40:41], v[40:41], v[22:23]
	v_fmamk_f64 v[22:23], v[20:21], 0x3c91a62633145c00, v[22:23]
	v_add_f64_e32 v[38:39], v[38:39], v[40:41]
	s_delay_alu instid0(VALU_DEP_1) | instskip(NEXT) | instid1(VALU_DEP_1)
	v_add_f64_e64 v[22:23], v[38:39], -v[22:23]
	v_fmac_f64_e32 v[22:23], 0xb97b839a252049c0, v[20:21]
	s_delay_alu instid0(VALU_DEP_1) | instskip(NEXT) | instid1(VALU_DEP_1)
	v_add_f64_e32 v[40:41], v[18:19], v[22:23]
	v_add_f64_e64 v[18:19], v[40:41], -v[18:19]
	s_delay_alu instid0(VALU_DEP_1)
	v_add_f64_e64 v[46:47], v[22:23], -v[18:19]
.LBB0_94:                               ;   in Loop: Header=BB0_90 Depth=2
	s_or_b32 exec_lo, exec_lo, s1
                                        ; implicit-def: $vgpr38
                                        ; implicit-def: $vgpr18_vgpr19
                                        ; implicit-def: $vgpr22_vgpr23
	s_and_saveexec_b32 s1, s0
	s_delay_alu instid0(SALU_CYCLE_1)
	s_xor_b32 s0, exec_lo, s1
	s_cbranch_execz .LBB0_96
; %bb.95:                               ;   in Loop: Header=BB0_90 Depth=2
	v_cmp_le_f64_e64 vcc_lo, 0x7b000000, |v[24:25]|
	v_cndmask_b32_e32 v17, v0, v17, vcc_lo
	v_cndmask_b32_e32 v16, v24, v16, vcc_lo
	s_delay_alu instid0(VALU_DEP_1) | instskip(SKIP_1) | instid1(VALU_DEP_2)
	v_mul_f64_e32 v[18:19], v[14:15], v[16:17]
	v_mul_f64_e32 v[20:21], v[6:7], v[16:17]
	v_fma_f64 v[14:15], v[14:15], v[16:17], -v[18:19]
	s_delay_alu instid0(VALU_DEP_1) | instskip(NEXT) | instid1(VALU_DEP_1)
	v_add_f64_e32 v[22:23], v[20:21], v[14:15]
	v_add_f64_e64 v[38:39], v[22:23], -v[20:21]
	v_add_f64_e32 v[50:51], v[18:19], v[22:23]
	s_delay_alu instid0(VALU_DEP_2) | instskip(SKIP_2) | instid1(VALU_DEP_4)
	v_add_f64_e64 v[48:49], v[22:23], -v[38:39]
	v_fma_f64 v[6:7], v[6:7], v[16:17], -v[20:21]
	v_add_f64_e64 v[14:15], v[14:15], -v[38:39]
	v_ldexp_f64 v[38:39], v[50:51], -2
	v_mul_f64_e32 v[52:53], v[2:3], v[16:17]
	v_add_f64_e64 v[18:19], v[50:51], -v[18:19]
	v_add_f64_e64 v[20:21], v[20:21], -v[48:49]
	s_delay_alu instid0(VALU_DEP_4) | instskip(NEXT) | instid1(VALU_DEP_4)
	v_cmp_neq_f64_e64 vcc_lo, 0x7ff00000, |v[38:39]|
	v_add_f64_e32 v[48:49], v[52:53], v[6:7]
	v_fma_f64 v[2:3], v[2:3], v[16:17], -v[52:53]
	s_delay_alu instid0(VALU_DEP_4) | instskip(SKIP_1) | instid1(VALU_DEP_1)
	v_add_f64_e32 v[14:15], v[14:15], v[20:21]
	v_fract_f64_e32 v[20:21], v[38:39]
	v_ldexp_f64 v[20:21], v[20:21], 2
	s_delay_alu instid0(VALU_DEP_1) | instskip(NEXT) | instid1(VALU_DEP_2)
	v_dual_add_f64 v[18:19], v[22:23], -v[18:19] :: v_dual_cndmask_b32 v21, 0, v21, vcc_lo
	v_dual_add_f64 v[22:23], v[48:49], v[14:15] :: v_dual_cndmask_b32 v20, 0, v20, vcc_lo
	s_delay_alu instid0(VALU_DEP_1) | instskip(SKIP_1) | instid1(VALU_DEP_2)
	v_add_f64_e32 v[38:39], v[18:19], v[22:23]
	v_add_f64_e64 v[54:55], v[22:23], -v[48:49]
	v_add_f64_e32 v[50:51], v[38:39], v[20:21]
	s_delay_alu instid0(VALU_DEP_2) | instskip(SKIP_2) | instid1(VALU_DEP_4)
	v_add_f64_e64 v[72:73], v[22:23], -v[54:55]
	v_add_f64_e64 v[14:15], v[14:15], -v[54:55]
	;; [unrolled: 1-line block ×3, first 2 shown]
	v_cmp_gt_f64_e32 vcc_lo, 0, v[50:51]
	v_add_f64_e64 v[50:51], v[48:49], -v[52:53]
	s_delay_alu instid0(VALU_DEP_3) | instskip(SKIP_1) | instid1(VALU_DEP_3)
	v_add_f64_e64 v[16:17], v[22:23], -v[16:17]
	v_cndmask_b32_e64 v27, 0, 0x40100000, vcc_lo
	v_add_f64_e64 v[70:71], v[48:49], -v[50:51]
	v_add_f64_e64 v[6:7], v[6:7], -v[50:51]
	;; [unrolled: 1-line block ×3, first 2 shown]
	s_delay_alu instid0(VALU_DEP_4) | instskip(NEXT) | instid1(VALU_DEP_4)
	v_add_f64_e32 v[20:21], v[20:21], v[26:27]
	v_add_f64_e64 v[50:51], v[52:53], -v[70:71]
	s_delay_alu instid0(VALU_DEP_3) | instskip(NEXT) | instid1(VALU_DEP_3)
	v_add_f64_e32 v[14:15], v[14:15], v[48:49]
	v_add_f64_e32 v[68:69], v[38:39], v[20:21]
	s_delay_alu instid0(VALU_DEP_3) | instskip(NEXT) | instid1(VALU_DEP_2)
	v_add_f64_e32 v[6:7], v[6:7], v[50:51]
	v_cvt_i32_f64_e32 v0, v[68:69]
	s_delay_alu instid0(VALU_DEP_2) | instskip(NEXT) | instid1(VALU_DEP_2)
	v_add_f64_e32 v[6:7], v[6:7], v[14:15]
	v_cvt_f64_i32_e32 v[54:55], v0
	s_delay_alu instid0(VALU_DEP_2) | instskip(NEXT) | instid1(VALU_DEP_2)
	v_add_f64_e32 v[2:3], v[2:3], v[6:7]
	v_add_f64_e64 v[20:21], v[20:21], -v[54:55]
	s_delay_alu instid0(VALU_DEP_2) | instskip(NEXT) | instid1(VALU_DEP_2)
	v_add_f64_e32 v[2:3], v[16:17], v[2:3]
	v_add_f64_e32 v[14:15], v[38:39], v[20:21]
	s_delay_alu instid0(VALU_DEP_1) | instskip(SKIP_1) | instid1(VALU_DEP_2)
	v_add_f64_e64 v[6:7], v[14:15], -v[20:21]
	v_cmp_le_f64_e32 vcc_lo, 0.5, v[14:15]
	v_add_f64_e64 v[6:7], v[38:39], -v[6:7]
	v_cndmask_b32_e64 v27, 0, 0x3ff00000, vcc_lo
	v_add_co_ci_u32_e64 v38, null, 0, v0, vcc_lo
	s_delay_alu instid0(VALU_DEP_3) | instskip(NEXT) | instid1(VALU_DEP_3)
	v_add_f64_e32 v[2:3], v[2:3], v[6:7]
	v_add_f64_e64 v[6:7], v[14:15], -v[26:27]
	s_delay_alu instid0(VALU_DEP_1) | instskip(NEXT) | instid1(VALU_DEP_1)
	v_add_f64_e32 v[14:15], v[6:7], v[2:3]
	v_mul_f64_e32 v[16:17], 0x3ff921fb54442d18, v[14:15]
	v_add_f64_e64 v[6:7], v[14:15], -v[6:7]
	s_delay_alu instid0(VALU_DEP_2) | instskip(NEXT) | instid1(VALU_DEP_2)
	v_fma_f64 v[20:21], v[14:15], s[10:11], -v[16:17]
	v_add_f64_e64 v[2:3], v[2:3], -v[6:7]
	s_delay_alu instid0(VALU_DEP_2) | instskip(NEXT) | instid1(VALU_DEP_1)
	v_fmac_f64_e32 v[20:21], 0x3c91a62633145c07, v[14:15]
	v_fmac_f64_e32 v[20:21], 0x3ff921fb54442d18, v[2:3]
	s_delay_alu instid0(VALU_DEP_1) | instskip(NEXT) | instid1(VALU_DEP_1)
	v_add_f64_e32 v[18:19], v[16:17], v[20:21]
	v_add_f64_e64 v[2:3], v[18:19], -v[16:17]
	s_delay_alu instid0(VALU_DEP_1)
	v_add_f64_e64 v[22:23], v[20:21], -v[2:3]
                                        ; implicit-def: $vgpr20_vgpr21
	s_and_not1_saveexec_b32 s0, s0
	s_cbranch_execnz .LBB0_97
	s_branch .LBB0_98
.LBB0_96:                               ;   in Loop: Header=BB0_90 Depth=2
	s_and_not1_saveexec_b32 s0, s0
	s_cbranch_execz .LBB0_98
.LBB0_97:                               ;   in Loop: Header=BB0_90 Depth=2
	s_delay_alu instid0(VALU_DEP_1) | instskip(SKIP_2) | instid1(VALU_DEP_2)
	v_fma_f64 v[2:3], v[20:21], s[14:15], |v[24:25]|
	v_mul_f64_e32 v[6:7], 0xbc91a62633145c00, v[20:21]
	v_cvt_i32_f64_e32 v38, v[20:21]
	v_add_f64_e32 v[14:15], v[2:3], v[6:7]
	s_delay_alu instid0(VALU_DEP_1) | instskip(SKIP_1) | instid1(VALU_DEP_1)
	v_add_f64_e64 v[16:17], v[2:3], -v[14:15]
	v_fmamk_f64 v[2:3], v[20:21], 0xbc91a62633145c00, v[2:3]
	v_add_f64_e64 v[14:15], v[14:15], -v[2:3]
	s_delay_alu instid0(VALU_DEP_3) | instskip(SKIP_1) | instid1(VALU_DEP_2)
	v_add_f64_e32 v[16:17], v[16:17], v[6:7]
	v_fmamk_f64 v[6:7], v[20:21], 0x3c91a62633145c00, v[6:7]
	v_add_f64_e32 v[14:15], v[14:15], v[16:17]
	s_delay_alu instid0(VALU_DEP_1) | instskip(NEXT) | instid1(VALU_DEP_1)
	v_add_f64_e64 v[6:7], v[14:15], -v[6:7]
	v_fmac_f64_e32 v[6:7], 0xb97b839a252049c0, v[20:21]
	s_delay_alu instid0(VALU_DEP_1) | instskip(NEXT) | instid1(VALU_DEP_1)
	v_add_f64_e32 v[18:19], v[2:3], v[6:7]
	v_add_f64_e64 v[2:3], v[18:19], -v[2:3]
	s_delay_alu instid0(VALU_DEP_1)
	v_add_f64_e64 v[22:23], v[6:7], -v[2:3]
.LBB0_98:                               ;   in Loop: Header=BB0_90 Depth=2
	s_or_b32 exec_lo, exec_lo, s0
	scratch_load_b64 v[4:5], off, off offset:16 ; 8-byte Folded Reload
	v_cmp_class_f64_e64 s0, v[24:25], 0x1f8
	v_mul_f64_e32 v[2:3], v[18:19], v[18:19]
	v_mul_f64_e32 v[16:17], 0.5, v[22:23]
	v_and_b32_e32 v0, 1, v38
	s_delay_alu instid0(VALU_DEP_1) | instskip(NEXT) | instid1(VALU_DEP_4)
	v_cmp_eq_u32_e32 vcc_lo, 0, v0
	v_mul_f64_e32 v[6:7], 0.5, v[2:3]
	v_mul_f64_e64 v[20:21], v[18:19], -v[2:3]
	v_fmamk_f64 v[50:51], v[2:3], 0x3de5e0b2f9a43bb8, v[126:127]
	s_delay_alu instid0(VALU_DEP_1) | instskip(NEXT) | instid1(VALU_DEP_1)
	v_fmaak_f64 v[50:51], v[2:3], v[50:51], 0x3ec71de3796cde01
	v_fmaak_f64 v[50:51], v[2:3], v[50:51], 0xbf2a01a019e83e5c
	s_delay_alu instid0(VALU_DEP_1) | instskip(SKIP_1) | instid1(VALU_DEP_2)
	v_fmaak_f64 v[50:51], v[2:3], v[50:51], 0x3f81111111110bb3
	v_add_f64_e64 v[14:15], -v[6:7], 1.0
	v_fmac_f64_e32 v[16:17], v[20:21], v[50:51]
	v_mul_f64_e32 v[50:51], v[2:3], v[2:3]
	s_delay_alu instid0(VALU_DEP_3) | instskip(NEXT) | instid1(VALU_DEP_3)
	v_add_f64_e64 v[48:49], -v[14:15], 1.0
	v_fma_f64 v[16:17], v[2:3], v[16:17], -v[22:23]
	s_delay_alu instid0(VALU_DEP_2) | instskip(SKIP_1) | instid1(VALU_DEP_3)
	v_add_f64_e64 v[6:7], v[48:49], -v[6:7]
	v_fmamk_f64 v[48:49], v[2:3], 0xbda907db46cc5e42, v[64:65]
	v_fmac_f64_e32 v[16:17], 0xbfc5555555555555, v[20:21]
	s_delay_alu instid0(VALU_DEP_3) | instskip(NEXT) | instid1(VALU_DEP_3)
	v_fma_f64 v[6:7], v[18:19], -v[22:23], v[6:7]
	v_fmaak_f64 v[22:23], v[2:3], v[48:49], 0xbe927e4fa17f65f6
	s_delay_alu instid0(VALU_DEP_1) | instskip(NEXT) | instid1(VALU_DEP_1)
	v_fmaak_f64 v[22:23], v[2:3], v[22:23], 0x3efa01a019f4ec90
	v_fmaak_f64 v[22:23], v[2:3], v[22:23], 0xbf56c16c16c16967
	s_delay_alu instid0(VALU_DEP_1) | instskip(NEXT) | instid1(VALU_DEP_1)
	v_fmaak_f64 v[2:3], v[2:3], v[22:23], 0x3fa5555555555555
	v_fmac_f64_e32 v[6:7], v[50:51], v[2:3]
	v_add_f64_e64 v[2:3], v[18:19], -v[16:17]
	s_delay_alu instid0(VALU_DEP_2) | instskip(NEXT) | instid1(VALU_DEP_1)
	v_add_f64_e32 v[6:7], v[14:15], v[6:7]
	v_cndmask_b32_e32 v0, v2, v6, vcc_lo
	s_delay_alu instid0(VALU_DEP_3) | instskip(NEXT) | instid1(VALU_DEP_2)
	v_xor_b32_e32 v2, 0x80000000, v3
	v_dual_lshlrev_b32 v3, 30, v38 :: v_dual_cndmask_b32 v48, 0, v0, s0
	s_delay_alu instid0(VALU_DEP_2) | instskip(NEXT) | instid1(VALU_DEP_1)
	v_cndmask_b32_e32 v2, v2, v7, vcc_lo
                                        ; implicit-def: $vgpr0
	v_bitop3_b32 v2, v2, v3, 0x80000000 bitop3:0x78
	s_delay_alu instid0(VALU_DEP_1) | instskip(NEXT) | instid1(VALU_DEP_1)
	v_cndmask_b32_e64 v49, 0x7ff80000, v2, s0
	v_mul_f64_e32 v[2:3], v[48:49], v[48:49]
	s_wait_loadcnt 0x0
	v_mul_f64_e32 v[70:71], v[4:5], v[44:45]
	scratch_load_b64 v[4:5], off, off offset:64 ; 8-byte Folded Reload
	v_fmamk_f64 v[14:15], v[70:71], 0x3fc999999999999a, v[36:37]
	s_delay_alu instid0(VALU_DEP_1) | instskip(NEXT) | instid1(VALU_DEP_1)
	v_mul_f64_e32 v[16:17], v[14:15], v[14:15]
	v_fma_f64 v[22:23], v[8:9], v[2:3], v[16:17]
	s_delay_alu instid0(VALU_DEP_1) | instskip(SKIP_1) | instid1(VALU_DEP_2)
	v_div_scale_f64 v[2:3], null, v[22:23], v[22:23], 1.0
	v_div_scale_f64 v[20:21], vcc_lo, 1.0, v[22:23], 1.0
	v_rcp_f64_e32 v[6:7], v[2:3]
	v_nop
	s_delay_alu instid0(TRANS32_DEP_1) | instskip(NEXT) | instid1(VALU_DEP_1)
	v_fma_f64 v[18:19], -v[2:3], v[6:7], 1.0
	v_fmac_f64_e32 v[6:7], v[6:7], v[18:19]
	s_delay_alu instid0(VALU_DEP_1) | instskip(NEXT) | instid1(VALU_DEP_1)
	v_fma_f64 v[18:19], -v[2:3], v[6:7], 1.0
	v_fmac_f64_e32 v[6:7], v[6:7], v[18:19]
	s_delay_alu instid0(VALU_DEP_1) | instskip(SKIP_2) | instid1(VALU_DEP_2)
	v_mul_f64_e32 v[18:19], v[20:21], v[6:7]
	s_wait_loadcnt 0x0
	v_mul_f64_e32 v[68:69], v[4:5], v[44:45]
	v_fma_f64 v[2:3], -v[2:3], v[18:19], v[20:21]
                                        ; implicit-def: $vgpr20_vgpr21
	s_delay_alu instid0(VALU_DEP_1) | instskip(NEXT) | instid1(VALU_DEP_1)
	v_div_fmas_f64 v[2:3], v[2:3], v[6:7], v[18:19]
                                        ; implicit-def: $vgpr6_vgpr7
	v_div_fixup_f64 v[18:19], v[2:3], v[22:23], 1.0
	s_delay_alu instid0(VALU_DEP_4) | instskip(NEXT) | instid1(VALU_DEP_1)
	v_fmamk_f64 v[2:3], v[68:69], 0x3fc999999999999a, v[62:63]
	v_mul_f64_e64 v[2:3], v[18:19], -v[2:3]
	s_delay_alu instid0(VALU_DEP_1) | instskip(SKIP_3) | instid1(VALU_DEP_1)
	v_mul_f64_e32 v[82:83], v[44:45], v[2:3]
	scratch_load_b64 v[2:3], off, off       ; 8-byte Folded Reload
	s_wait_loadcnt 0x0
	v_fmamk_f64 v[2:3], v[42:43], 0x3fb3333333333333, v[2:3]
	v_fmac_f64_e32 v[2:3], 0x3fcccccccccccccd, v[82:83]
	s_delay_alu instid0(VALU_DEP_1)
	v_cmp_ngt_f64_e64 s1, 0x41d00000, |v[2:3]|
	v_trig_preop_f64 v[52:53], |v[2:3]|, 0
	v_trig_preop_f64 v[50:51], |v[2:3]|, 1
	v_ldexp_f64 v[54:55], |v[2:3]|, 0xffffff80
	v_trig_preop_f64 v[38:39], |v[2:3]|, 2
	v_and_b32_e32 v24, 0x7fffffff, v3
	s_wait_xcnt 0x0
	s_and_saveexec_b32 s24, s1
	s_delay_alu instid0(SALU_CYCLE_1)
	s_xor_b32 s24, exec_lo, s24
	s_cbranch_execz .LBB0_100
; %bb.99:                               ;   in Loop: Header=BB0_90 Depth=2
	v_cmp_le_f64_e64 vcc_lo, 0x7b000000, |v[2:3]|
	s_delay_alu instid0(VALU_DEP_4) | instskip(NEXT) | instid1(VALU_DEP_1)
	v_dual_cndmask_b32 v73, v24, v55 :: v_dual_cndmask_b32 v72, v2, v54
	v_mul_f64_e32 v[74:75], v[52:53], v[72:73]
	v_mul_f64_e32 v[6:7], v[50:51], v[72:73]
	;; [unrolled: 1-line block ×3, first 2 shown]
	s_delay_alu instid0(VALU_DEP_3) | instskip(NEXT) | instid1(VALU_DEP_1)
	v_fma_f64 v[76:77], v[52:53], v[72:73], -v[74:75]
	v_add_f64_e32 v[78:79], v[6:7], v[76:77]
	s_delay_alu instid0(VALU_DEP_1) | instskip(SKIP_1) | instid1(VALU_DEP_2)
	v_add_f64_e64 v[86:87], v[78:79], -v[6:7]
	v_add_f64_e32 v[80:81], v[74:75], v[78:79]
	v_add_f64_e64 v[76:77], v[76:77], -v[86:87]
	v_add_f64_e64 v[86:87], v[78:79], -v[86:87]
	s_delay_alu instid0(VALU_DEP_3) | instskip(NEXT) | instid1(VALU_DEP_2)
	v_ldexp_f64 v[20:21], v[80:81], -2
	v_add_f64_e64 v[86:87], v[6:7], -v[86:87]
	s_delay_alu instid0(VALU_DEP_2) | instskip(SKIP_1) | instid1(VALU_DEP_3)
	v_fract_f64_e32 v[84:85], v[20:21]
	v_cmp_neq_f64_e64 vcc_lo, 0x7ff00000, |v[20:21]|
	v_add_f64_e32 v[76:77], v[76:77], v[86:87]
	v_fma_f64 v[86:87], v[50:51], v[72:73], -v[6:7]
	v_add_f64_e64 v[6:7], v[80:81], -v[74:75]
	v_fma_f64 v[72:73], v[38:39], v[72:73], -v[88:89]
	s_delay_alu instid0(VALU_DEP_3) | instskip(NEXT) | instid1(VALU_DEP_3)
	v_add_f64_e32 v[90:91], v[88:89], v[86:87]
	v_add_f64_e64 v[74:75], v[78:79], -v[6:7]
	s_delay_alu instid0(VALU_DEP_2) | instskip(NEXT) | instid1(VALU_DEP_1)
	v_add_f64_e32 v[92:93], v[90:91], v[76:77]
	v_add_f64_e64 v[78:79], v[92:93], -v[90:91]
	s_delay_alu instid0(VALU_DEP_3) | instskip(NEXT) | instid1(VALU_DEP_2)
	v_add_f64_e32 v[6:7], v[74:75], v[92:93]
	v_add_f64_e64 v[76:77], v[76:77], -v[78:79]
	v_add_f64_e64 v[78:79], v[92:93], -v[78:79]
	s_delay_alu instid0(VALU_DEP_3) | instskip(NEXT) | instid1(VALU_DEP_2)
	v_add_f64_e64 v[74:75], v[6:7], -v[74:75]
	v_add_f64_e64 v[78:79], v[90:91], -v[78:79]
	s_delay_alu instid0(VALU_DEP_2) | instskip(NEXT) | instid1(VALU_DEP_2)
	v_add_f64_e64 v[74:75], v[92:93], -v[74:75]
	v_add_f64_e32 v[76:77], v[76:77], v[78:79]
	v_add_f64_e64 v[78:79], v[90:91], -v[88:89]
	s_delay_alu instid0(VALU_DEP_1) | instskip(SKIP_1) | instid1(VALU_DEP_1)
	v_add_f64_e64 v[80:81], v[86:87], -v[78:79]
	v_add_f64_e64 v[78:79], v[90:91], -v[78:79]
	;; [unrolled: 1-line block ×3, first 2 shown]
	s_delay_alu instid0(VALU_DEP_1) | instskip(NEXT) | instid1(VALU_DEP_1)
	v_add_f64_e32 v[78:79], v[80:81], v[78:79]
	v_add_f64_e32 v[76:77], v[78:79], v[76:77]
	s_delay_alu instid0(VALU_DEP_1) | instskip(NEXT) | instid1(VALU_DEP_1)
	v_add_f64_e32 v[72:73], v[72:73], v[76:77]
	v_add_f64_e32 v[72:73], v[74:75], v[72:73]
	v_ldexp_f64 v[74:75], v[84:85], 2
	s_delay_alu instid0(VALU_DEP_1) | instskip(NEXT) | instid1(VALU_DEP_1)
	v_dual_cndmask_b32 v21, 0, v75 :: v_dual_cndmask_b32 v20, 0, v74
	v_add_f64_e32 v[74:75], v[6:7], v[20:21]
	s_delay_alu instid0(VALU_DEP_1) | instskip(SKIP_1) | instid1(VALU_DEP_1)
	v_cmp_gt_f64_e32 vcc_lo, 0, v[74:75]
	v_cndmask_b32_e64 v27, 0, 0x40100000, vcc_lo
	v_add_f64_e32 v[20:21], v[20:21], v[26:27]
	s_delay_alu instid0(VALU_DEP_1) | instskip(NEXT) | instid1(VALU_DEP_1)
	v_add_f64_e32 v[74:75], v[6:7], v[20:21]
	v_cvt_i32_f64_e32 v0, v[74:75]
	s_delay_alu instid0(VALU_DEP_1) | instskip(NEXT) | instid1(VALU_DEP_1)
	v_cvt_f64_i32_e32 v[74:75], v0
	v_add_f64_e64 v[20:21], v[20:21], -v[74:75]
	s_delay_alu instid0(VALU_DEP_1) | instskip(NEXT) | instid1(VALU_DEP_1)
	v_add_f64_e32 v[74:75], v[6:7], v[20:21]
	v_add_f64_e64 v[20:21], v[74:75], -v[20:21]
	v_cmp_le_f64_e32 vcc_lo, 0.5, v[74:75]
	s_delay_alu instid0(VALU_DEP_2) | instskip(SKIP_2) | instid1(VALU_DEP_2)
	v_add_f64_e64 v[6:7], v[6:7], -v[20:21]
	v_cndmask_b32_e64 v27, 0, 0x3ff00000, vcc_lo
	v_add_co_ci_u32_e64 v0, null, 0, v0, vcc_lo
	v_add_f64_e64 v[20:21], v[74:75], -v[26:27]
	s_delay_alu instid0(VALU_DEP_4) | instskip(NEXT) | instid1(VALU_DEP_1)
	v_add_f64_e32 v[6:7], v[72:73], v[6:7]
	v_add_f64_e32 v[72:73], v[20:21], v[6:7]
	s_delay_alu instid0(VALU_DEP_1) | instskip(NEXT) | instid1(VALU_DEP_1)
	v_add_f64_e64 v[20:21], v[72:73], -v[20:21]
	v_add_f64_e64 v[6:7], v[6:7], -v[20:21]
	v_mul_f64_e32 v[20:21], 0x3ff921fb54442d18, v[72:73]
	s_delay_alu instid0(VALU_DEP_1) | instskip(NEXT) | instid1(VALU_DEP_1)
	v_fma_f64 v[74:75], v[72:73], s[10:11], -v[20:21]
	v_fmac_f64_e32 v[74:75], 0x3c91a62633145c07, v[72:73]
	s_delay_alu instid0(VALU_DEP_1) | instskip(NEXT) | instid1(VALU_DEP_1)
	v_fmac_f64_e32 v[74:75], 0x3ff921fb54442d18, v[6:7]
	v_add_f64_e32 v[6:7], v[20:21], v[74:75]
	s_delay_alu instid0(VALU_DEP_1) | instskip(NEXT) | instid1(VALU_DEP_1)
	v_add_f64_e64 v[20:21], v[6:7], -v[20:21]
	v_add_f64_e64 v[20:21], v[74:75], -v[20:21]
.LBB0_100:                              ;   in Loop: Header=BB0_90 Depth=2
	s_or_saveexec_b32 s24, s24
	v_mul_f64_e64 v[72:73], |v[2:3]|, s[12:13]
	s_delay_alu instid0(VALU_DEP_1)
	v_rndne_f64_e32 v[72:73], v[72:73]
	s_xor_b32 exec_lo, exec_lo, s24
	s_cbranch_execz .LBB0_102
; %bb.101:                              ;   in Loop: Header=BB0_90 Depth=2
	s_delay_alu instid0(VALU_DEP_1) | instskip(SKIP_2) | instid1(VALU_DEP_3)
	v_fma_f64 v[6:7], v[72:73], s[14:15], |v[2:3]|
	v_mul_f64_e32 v[20:21], 0xbc91a62633145c00, v[72:73]
	v_cvt_i32_f64_e32 v0, v[72:73]
	v_fmamk_f64 v[78:79], v[72:73], 0xbc91a62633145c00, v[6:7]
	s_delay_alu instid0(VALU_DEP_3) | instskip(NEXT) | instid1(VALU_DEP_1)
	v_add_f64_e32 v[74:75], v[6:7], v[20:21]
	v_add_f64_e64 v[76:77], v[6:7], -v[74:75]
	s_delay_alu instid0(VALU_DEP_3) | instskip(NEXT) | instid1(VALU_DEP_2)
	v_add_f64_e64 v[6:7], v[74:75], -v[78:79]
	v_add_f64_e32 v[74:75], v[76:77], v[20:21]
	v_fmamk_f64 v[20:21], v[72:73], 0x3c91a62633145c00, v[20:21]
	s_delay_alu instid0(VALU_DEP_2) | instskip(NEXT) | instid1(VALU_DEP_1)
	v_add_f64_e32 v[6:7], v[6:7], v[74:75]
	v_add_f64_e64 v[20:21], v[6:7], -v[20:21]
	s_delay_alu instid0(VALU_DEP_1) | instskip(NEXT) | instid1(VALU_DEP_1)
	v_fmac_f64_e32 v[20:21], 0xb97b839a252049c0, v[72:73]
	v_add_f64_e32 v[6:7], v[78:79], v[20:21]
	s_delay_alu instid0(VALU_DEP_1) | instskip(NEXT) | instid1(VALU_DEP_1)
	v_add_f64_e64 v[74:75], v[6:7], -v[78:79]
	v_add_f64_e64 v[20:21], v[20:21], -v[74:75]
.LBB0_102:                              ;   in Loop: Header=BB0_90 Depth=2
	s_or_b32 exec_lo, exec_lo, s24
                                        ; implicit-def: $vgpr78
                                        ; implicit-def: $vgpr74_vgpr75
                                        ; implicit-def: $vgpr76_vgpr77
	s_and_saveexec_b32 s24, s1
	s_delay_alu instid0(SALU_CYCLE_1)
	s_xor_b32 s1, exec_lo, s24
	s_cbranch_execz .LBB0_104
; %bb.103:                              ;   in Loop: Header=BB0_90 Depth=2
	v_cmp_le_f64_e64 vcc_lo, 0x7b000000, |v[2:3]|
	v_dual_cndmask_b32 v55, v24, v55 :: v_dual_cndmask_b32 v54, v2, v54
	s_delay_alu instid0(VALU_DEP_1) | instskip(SKIP_2) | instid1(VALU_DEP_3)
	v_mul_f64_e32 v[72:73], v[52:53], v[54:55]
	v_mul_f64_e32 v[74:75], v[50:51], v[54:55]
	;; [unrolled: 1-line block ×3, first 2 shown]
	v_fma_f64 v[52:53], v[52:53], v[54:55], -v[72:73]
	s_delay_alu instid0(VALU_DEP_3) | instskip(NEXT) | instid1(VALU_DEP_3)
	v_fma_f64 v[50:51], v[50:51], v[54:55], -v[74:75]
	v_fma_f64 v[38:39], v[38:39], v[54:55], -v[86:87]
	s_delay_alu instid0(VALU_DEP_3) | instskip(NEXT) | instid1(VALU_DEP_1)
	v_add_f64_e32 v[76:77], v[74:75], v[52:53]
	v_add_f64_e64 v[78:79], v[76:77], -v[74:75]
	v_add_f64_e32 v[84:85], v[72:73], v[76:77]
	s_delay_alu instid0(VALU_DEP_2) | instskip(SKIP_1) | instid1(VALU_DEP_3)
	v_add_f64_e64 v[80:81], v[76:77], -v[78:79]
	v_add_f64_e64 v[52:53], v[52:53], -v[78:79]
	v_ldexp_f64 v[78:79], v[84:85], -2
	s_delay_alu instid0(VALU_DEP_3) | instskip(SKIP_1) | instid1(VALU_DEP_3)
	v_add_f64_e64 v[74:75], v[74:75], -v[80:81]
	v_add_f64_e32 v[80:81], v[86:87], v[50:51]
	v_cmp_neq_f64_e64 vcc_lo, 0x7ff00000, |v[78:79]|
	s_delay_alu instid0(VALU_DEP_3) | instskip(SKIP_1) | instid1(VALU_DEP_1)
	v_add_f64_e32 v[52:53], v[52:53], v[74:75]
	v_fract_f64_e32 v[74:75], v[78:79]
	v_ldexp_f64 v[74:75], v[74:75], 2
	s_delay_alu instid0(VALU_DEP_1) | instskip(NEXT) | instid1(VALU_DEP_1)
	v_dual_add_f64 v[72:73], v[84:85], -v[72:73] :: v_dual_cndmask_b32 v74, 0, v74, vcc_lo
	v_dual_add_f64 v[72:73], v[76:77], -v[72:73] :: v_dual_cndmask_b32 v75, 0, v75, vcc_lo
	v_add_f64_e32 v[76:77], v[80:81], v[52:53]
	s_delay_alu instid0(VALU_DEP_1) | instskip(SKIP_1) | instid1(VALU_DEP_2)
	v_add_f64_e32 v[78:79], v[72:73], v[76:77]
	v_add_f64_e64 v[88:89], v[76:77], -v[80:81]
	v_add_f64_e32 v[84:85], v[78:79], v[74:75]
	s_delay_alu instid0(VALU_DEP_2) | instskip(SKIP_2) | instid1(VALU_DEP_4)
	v_add_f64_e64 v[94:95], v[76:77], -v[88:89]
	v_add_f64_e64 v[52:53], v[52:53], -v[88:89]
	;; [unrolled: 1-line block ×3, first 2 shown]
	v_cmp_gt_f64_e32 vcc_lo, 0, v[84:85]
	v_add_f64_e64 v[84:85], v[80:81], -v[86:87]
	s_delay_alu instid0(VALU_DEP_3) | instskip(SKIP_1) | instid1(VALU_DEP_3)
	v_add_f64_e64 v[54:55], v[76:77], -v[54:55]
	v_cndmask_b32_e64 v27, 0, 0x40100000, vcc_lo
	v_add_f64_e64 v[92:93], v[80:81], -v[84:85]
	v_add_f64_e64 v[50:51], v[50:51], -v[84:85]
	;; [unrolled: 1-line block ×3, first 2 shown]
	s_delay_alu instid0(VALU_DEP_4) | instskip(NEXT) | instid1(VALU_DEP_4)
	v_add_f64_e32 v[74:75], v[74:75], v[26:27]
	v_add_f64_e64 v[84:85], v[86:87], -v[92:93]
	s_delay_alu instid0(VALU_DEP_3) | instskip(NEXT) | instid1(VALU_DEP_3)
	v_add_f64_e32 v[52:53], v[52:53], v[80:81]
	v_add_f64_e32 v[90:91], v[78:79], v[74:75]
	s_delay_alu instid0(VALU_DEP_3) | instskip(NEXT) | instid1(VALU_DEP_2)
	v_add_f64_e32 v[50:51], v[50:51], v[84:85]
	v_cvt_i32_f64_e32 v4, v[90:91]
	s_delay_alu instid0(VALU_DEP_2) | instskip(NEXT) | instid1(VALU_DEP_2)
	v_add_f64_e32 v[50:51], v[50:51], v[52:53]
	v_cvt_f64_i32_e32 v[88:89], v4
	s_delay_alu instid0(VALU_DEP_2) | instskip(NEXT) | instid1(VALU_DEP_2)
	v_add_f64_e32 v[38:39], v[38:39], v[50:51]
	v_add_f64_e64 v[74:75], v[74:75], -v[88:89]
	s_delay_alu instid0(VALU_DEP_2) | instskip(NEXT) | instid1(VALU_DEP_2)
	v_add_f64_e32 v[38:39], v[54:55], v[38:39]
	v_add_f64_e32 v[52:53], v[78:79], v[74:75]
	s_delay_alu instid0(VALU_DEP_1) | instskip(SKIP_1) | instid1(VALU_DEP_2)
	v_add_f64_e64 v[50:51], v[52:53], -v[74:75]
	v_cmp_le_f64_e32 vcc_lo, 0.5, v[52:53]
	v_add_f64_e64 v[50:51], v[78:79], -v[50:51]
	v_cndmask_b32_e64 v27, 0, 0x3ff00000, vcc_lo
	v_add_co_ci_u32_e64 v78, null, 0, v4, vcc_lo
	s_delay_alu instid0(VALU_DEP_3) | instskip(NEXT) | instid1(VALU_DEP_3)
	v_add_f64_e32 v[38:39], v[38:39], v[50:51]
	v_add_f64_e64 v[50:51], v[52:53], -v[26:27]
	s_delay_alu instid0(VALU_DEP_1) | instskip(NEXT) | instid1(VALU_DEP_1)
	v_add_f64_e32 v[52:53], v[50:51], v[38:39]
	v_mul_f64_e32 v[54:55], 0x3ff921fb54442d18, v[52:53]
	v_add_f64_e64 v[50:51], v[52:53], -v[50:51]
	s_delay_alu instid0(VALU_DEP_2) | instskip(NEXT) | instid1(VALU_DEP_2)
	v_fma_f64 v[72:73], v[52:53], s[10:11], -v[54:55]
	v_add_f64_e64 v[38:39], v[38:39], -v[50:51]
	s_delay_alu instid0(VALU_DEP_2) | instskip(NEXT) | instid1(VALU_DEP_1)
	v_fmac_f64_e32 v[72:73], 0x3c91a62633145c07, v[52:53]
	v_fmac_f64_e32 v[72:73], 0x3ff921fb54442d18, v[38:39]
	s_delay_alu instid0(VALU_DEP_1) | instskip(NEXT) | instid1(VALU_DEP_1)
	v_add_f64_e32 v[74:75], v[54:55], v[72:73]
	v_add_f64_e64 v[38:39], v[74:75], -v[54:55]
	s_delay_alu instid0(VALU_DEP_1)
	v_add_f64_e64 v[76:77], v[72:73], -v[38:39]
                                        ; implicit-def: $vgpr72_vgpr73
	s_and_not1_saveexec_b32 s1, s1
	s_cbranch_execnz .LBB0_105
	s_branch .LBB0_106
.LBB0_104:                              ;   in Loop: Header=BB0_90 Depth=2
	s_and_not1_saveexec_b32 s1, s1
	s_cbranch_execz .LBB0_106
.LBB0_105:                              ;   in Loop: Header=BB0_90 Depth=2
	s_delay_alu instid0(VALU_DEP_1) | instskip(SKIP_2) | instid1(VALU_DEP_2)
	v_fma_f64 v[38:39], v[72:73], s[14:15], |v[2:3]|
	v_mul_f64_e32 v[50:51], 0xbc91a62633145c00, v[72:73]
	v_cvt_i32_f64_e32 v78, v[72:73]
	v_add_f64_e32 v[52:53], v[38:39], v[50:51]
	s_delay_alu instid0(VALU_DEP_1) | instskip(SKIP_1) | instid1(VALU_DEP_1)
	v_add_f64_e64 v[54:55], v[38:39], -v[52:53]
	v_fmamk_f64 v[38:39], v[72:73], 0xbc91a62633145c00, v[38:39]
	v_add_f64_e64 v[52:53], v[52:53], -v[38:39]
	s_delay_alu instid0(VALU_DEP_3) | instskip(SKIP_1) | instid1(VALU_DEP_2)
	v_add_f64_e32 v[54:55], v[54:55], v[50:51]
	v_fmamk_f64 v[50:51], v[72:73], 0x3c91a62633145c00, v[50:51]
	v_add_f64_e32 v[52:53], v[52:53], v[54:55]
	s_delay_alu instid0(VALU_DEP_1) | instskip(NEXT) | instid1(VALU_DEP_1)
	v_add_f64_e64 v[50:51], v[52:53], -v[50:51]
	v_fmac_f64_e32 v[50:51], 0xb97b839a252049c0, v[72:73]
	s_delay_alu instid0(VALU_DEP_1) | instskip(NEXT) | instid1(VALU_DEP_1)
	v_add_f64_e32 v[74:75], v[38:39], v[50:51]
	v_add_f64_e64 v[38:39], v[74:75], -v[38:39]
	s_delay_alu instid0(VALU_DEP_1)
	v_add_f64_e64 v[76:77], v[50:51], -v[38:39]
.LBB0_106:                              ;   in Loop: Header=BB0_90 Depth=2
	s_or_b32 exec_lo, exec_lo, s1
	v_mul_f64_e32 v[38:39], v[40:41], v[40:41]
	v_mul_f64_e32 v[54:55], 0.5, v[46:47]
	scratch_load_b64 v[10:11], off, off offset:56 ; 8-byte Folded Reload
	v_fma_f64 v[88:89], -2.0, v[14:15], v[16:17]
                                        ; implicit-def: $vgpr110_vgpr111
                                        ; implicit-def: $vgpr114_vgpr115
	v_dual_lshlrev_b32 v1, 30, v1 :: v_dual_bitop2_b32 v4, 1, v1 bitop3:0x40
	s_delay_alu instid0(VALU_DEP_1) | instskip(NEXT) | instid1(VALU_DEP_2)
	v_cmp_eq_u32_e32 vcc_lo, 0, v4
	v_dual_mul_f64 v[50:51], 0.5, v[38:39] :: v_dual_bitop2_b32 v1, v1, v25 bitop3:0x14
	v_mul_f64_e64 v[72:73], v[40:41], -v[38:39]
	v_fmamk_f64 v[84:85], v[38:39], 0x3de5e0b2f9a43bb8, v[126:127]
	v_mul_f64_e32 v[86:87], v[38:39], v[38:39]
	s_delay_alu instid0(VALU_DEP_2) | instskip(NEXT) | instid1(VALU_DEP_1)
	v_fmaak_f64 v[84:85], v[38:39], v[84:85], 0x3ec71de3796cde01
	v_fmaak_f64 v[84:85], v[38:39], v[84:85], 0xbf2a01a019e83e5c
	s_delay_alu instid0(VALU_DEP_1) | instskip(SKIP_1) | instid1(VALU_DEP_2)
	v_fmaak_f64 v[84:85], v[38:39], v[84:85], 0x3f81111111110bb3
	v_add_f64_e64 v[52:53], -v[50:51], 1.0
	v_fmac_f64_e32 v[54:55], v[72:73], v[84:85]
	v_fmamk_f64 v[84:85], v[38:39], 0xbda907db46cc5e42, v[64:65]
	s_delay_alu instid0(VALU_DEP_3) | instskip(NEXT) | instid1(VALU_DEP_3)
	v_add_f64_e64 v[80:81], -v[52:53], 1.0
	v_fma_f64 v[54:55], v[38:39], v[54:55], -v[46:47]
	s_delay_alu instid0(VALU_DEP_2) | instskip(SKIP_1) | instid1(VALU_DEP_3)
	v_add_f64_e64 v[50:51], v[80:81], -v[50:51]
	v_mul_f64_e32 v[80:81], v[74:75], v[74:75]
	v_fmac_f64_e32 v[54:55], 0xbfc5555555555555, v[72:73]
	s_delay_alu instid0(VALU_DEP_3) | instskip(SKIP_1) | instid1(VALU_DEP_4)
	v_fma_f64 v[46:47], v[40:41], -v[46:47], v[50:51]
	v_fmaak_f64 v[50:51], v[38:39], v[84:85], 0xbe927e4fa17f65f6
	v_mul_f64_e32 v[84:85], 0.5, v[80:81]
	s_delay_alu instid0(VALU_DEP_4) | instskip(SKIP_1) | instid1(VALU_DEP_4)
	v_add_f64_e64 v[40:41], v[40:41], -v[54:55]
	v_mul_f64_e32 v[54:55], 0.5, v[76:77]
	v_fmaak_f64 v[50:51], v[38:39], v[50:51], 0x3efa01a019f4ec90
	s_delay_alu instid0(VALU_DEP_1) | instskip(NEXT) | instid1(VALU_DEP_1)
	v_fmaak_f64 v[50:51], v[38:39], v[50:51], 0xbf56c16c16c16967
	v_fmaak_f64 v[38:39], v[38:39], v[50:51], 0x3fa5555555555555
	s_delay_alu instid0(VALU_DEP_1) | instskip(SKIP_1) | instid1(VALU_DEP_2)
	v_fmac_f64_e32 v[46:47], v[86:87], v[38:39]
	v_mul_f64_e64 v[86:87], v[74:75], -v[80:81]
	v_add_f64_e32 v[46:47], v[52:53], v[46:47]
	v_fmamk_f64 v[52:53], v[80:81], 0x3de5e0b2f9a43bb8, v[126:127]
	s_delay_alu instid0(VALU_DEP_1) | instskip(NEXT) | instid1(VALU_DEP_1)
	v_fmaak_f64 v[52:53], v[80:81], v[52:53], 0x3ec71de3796cde01
	v_fmaak_f64 v[52:53], v[80:81], v[52:53], 0xbf2a01a019e83e5c
	s_delay_alu instid0(VALU_DEP_1) | instskip(SKIP_2) | instid1(VALU_DEP_3)
	v_fmaak_f64 v[24:25], v[80:81], v[52:53], 0x3f81111111110bb3
	v_add_f64_e32 v[52:53], v[8:9], v[88:89]
	v_mul_f64_e32 v[88:89], v[80:81], v[80:81]
	v_fmac_f64_e32 v[54:55], v[86:87], v[24:25]
	v_dual_cndmask_b32 v4, v46, v40 :: v_dual_cndmask_b32 v5, v47, v41
	s_delay_alu instid0(VALU_DEP_1) | instskip(SKIP_1) | instid1(VALU_DEP_3)
	v_dual_cndmask_b32 v46, 0, v4, s0 :: v_dual_lshlrev_b32 v4, 30, v78
	v_add_f64_e64 v[38:39], -v[84:85], 1.0
	v_bitop3_b32 v1, v5, v1, 0x80000000 bitop3:0x78
	s_delay_alu instid0(VALU_DEP_1) | instskip(SKIP_2) | instid1(VALU_DEP_3)
	v_cndmask_b32_e64 v47, 0x7ff80000, v1, s0
	v_and_b32_e32 v1, 1, v78
	v_cmp_class_f64_e64 s0, v[2:3], 0x1f8
	v_mul_f64_e32 v[40:41], v[46:47], v[46:47]
	v_cmp_gt_f64_e64 s1, s[16:17], v[46:47]
	s_delay_alu instid0(VALU_DEP_4) | instskip(SKIP_2) | instid1(VALU_DEP_4)
	v_cmp_eq_u32_e32 vcc_lo, 0, v1
	v_fma_f64 v[54:55], v[80:81], v[54:55], -v[76:77]
	v_add_f64_e64 v[50:51], -v[38:39], 1.0
	v_cndmask_b32_e64 v41, v41, 0x3c9cd2b2, s1
	v_cndmask_b32_e64 v40, v40, 0x97d889bc, s1
	;; [unrolled: 1-line block ×4, first 2 shown]
	s_delay_alu instid0(VALU_DEP_3) | instskip(NEXT) | instid1(VALU_DEP_2)
	v_mul_f64_e32 v[90:91], v[40:41], v[40:41]
	v_mul_f64_e64 v[46:47], -v[46:47], v[48:49]
	v_fmac_f64_e32 v[54:55], 0xbfc5555555555555, v[86:87]
	v_fmamk_f64 v[86:87], v[70:71], 0x3fb3333333333333, v[36:37]
	v_add_f64_e64 v[24:25], v[50:51], -v[84:85]
	v_fmamk_f64 v[84:85], v[80:81], 0xbda907db46cc5e42, v[64:65]
	s_delay_alu instid0(VALU_DEP_4) | instskip(NEXT) | instid1(VALU_DEP_3)
	v_add_f64_e64 v[54:55], v[74:75], -v[54:55]
	v_fma_f64 v[24:25], v[74:75], -v[76:77], v[24:25]
	s_delay_alu instid0(VALU_DEP_3) | instskip(NEXT) | instid1(VALU_DEP_1)
	v_fmaak_f64 v[76:77], v[80:81], v[84:85], 0xbe927e4fa17f65f6
	v_fmaak_f64 v[40:41], v[80:81], v[76:77], 0x3efa01a019f4ec90
	v_div_scale_f64 v[76:77], null, v[90:91], v[90:91], v[34:35]
	s_delay_alu instid0(VALU_DEP_2) | instskip(NEXT) | instid1(VALU_DEP_1)
	v_fmaak_f64 v[40:41], v[80:81], v[40:41], 0xbf56c16c16c16967
	v_fmaak_f64 v[40:41], v[80:81], v[40:41], 0x3fa5555555555555
	v_xor_b32_e32 v2, 0x80000000, v55
	s_delay_alu instid0(VALU_DEP_2) | instskip(NEXT) | instid1(VALU_DEP_1)
	v_fmac_f64_e32 v[24:25], v[88:89], v[40:41]
	v_add_f64_e32 v[24:25], v[38:39], v[24:25]
	v_rcp_f64_e32 v[38:39], v[76:77]
	s_delay_alu instid0(VALU_DEP_1) | instskip(NEXT) | instid1(VALU_DEP_2)
	v_cndmask_b32_e32 v2, v2, v25, vcc_lo
	v_cndmask_b32_e32 v1, v54, v24, vcc_lo
	s_delay_alu instid0(VALU_DEP_2) | instskip(SKIP_4) | instid1(VALU_DEP_2)
	v_bitop3_b32 v2, v2, v4, 0x80000000 bitop3:0x78
	scratch_load_b64 v[4:5], off, off       ; 8-byte Folded Reload
	s_wait_loadcnt 0x1
	v_mul_f64_e64 v[72:73], v[44:45], -v[10:11]
	v_fma_f64 v[74:75], -v[76:77], v[38:39], 1.0
	v_fmamk_f64 v[50:51], v[72:73], 0x3fc999999999999a, v[28:29]
	s_delay_alu instid0(VALU_DEP_2) | instskip(SKIP_1) | instid1(VALU_DEP_3)
	v_fmac_f64_e32 v[38:39], v[38:39], v[74:75]
	v_div_scale_f64 v[74:75], vcc_lo, v[34:35], v[90:91], v[34:35]
	v_mul_f64_e64 v[84:85], v[52:53], -v[50:51]
	s_delay_alu instid0(VALU_DEP_1) | instskip(NEXT) | instid1(VALU_DEP_1)
	v_mul_f64_e32 v[40:41], v[84:85], v[18:19]
	v_mul_f64_e32 v[88:89], v[44:45], v[40:41]
	v_cndmask_b32_e64 v40, 0, v1, s0
	v_cndmask_b32_e64 v41, 0x7ff80000, v2, s0
                                        ; implicit-def: $vgpr1
	s_delay_alu instid0(VALU_DEP_1) | instskip(NEXT) | instid1(VALU_DEP_4)
	v_mul_f64_e32 v[24:25], v[40:41], v[40:41]
	v_fmac_f64_e32 v[86:87], 0x3fcccccccccccccd, v[88:89]
	s_delay_alu instid0(VALU_DEP_1) | instskip(NEXT) | instid1(VALU_DEP_1)
	v_mul_f64_e32 v[98:99], v[86:87], v[86:87]
	v_fma_f64 v[92:93], v[8:9], v[24:25], v[98:99]
	v_fma_f64 v[24:25], -v[76:77], v[38:39], 1.0
	s_delay_alu instid0(VALU_DEP_2) | instskip(NEXT) | instid1(VALU_DEP_2)
	v_div_scale_f64 v[54:55], null, v[92:93], v[92:93], 1.0
	v_fmac_f64_e32 v[38:39], v[38:39], v[24:25]
	s_delay_alu instid0(VALU_DEP_2) | instskip(NEXT) | instid1(VALU_DEP_1)
	v_rcp_f64_e32 v[24:25], v[54:55]
	v_mul_f64_e32 v[78:79], v[74:75], v[38:39]
	s_delay_alu instid0(VALU_DEP_1) | instskip(NEXT) | instid1(TRANS32_DEP_1)
	v_fma_f64 v[74:75], -v[76:77], v[78:79], v[74:75]
	v_fma_f64 v[80:81], -v[54:55], v[24:25], 1.0
	s_wait_loadcnt 0x0
	v_fmamk_f64 v[84:85], v[42:43], 0x3fd3333333333333, v[4:5]
	s_delay_alu instid0(VALU_DEP_1) | instskip(NEXT) | instid1(VALU_DEP_4)
	v_fmac_f64_e32 v[84:85], 0xbfeccccccccccccd, v[82:83]
	v_div_fmas_f64 v[38:39], v[74:75], v[38:39], v[78:79]
	v_div_scale_f64 v[48:49], vcc_lo, 1.0, v[92:93], 1.0
	v_fmac_f64_e32 v[24:25], v[24:25], v[80:81]
	s_delay_alu instid0(VALU_DEP_3) | instskip(NEXT) | instid1(VALU_DEP_2)
	v_div_fixup_f64 v[38:39], v[38:39], v[90:91], v[34:35]
	v_fma_f64 v[74:75], -v[54:55], v[24:25], 1.0
	s_delay_alu instid0(VALU_DEP_2) | instskip(NEXT) | instid1(VALU_DEP_2)
	v_add_f64_e64 v[38:39], v[38:39], -v[8:9]
	v_fmac_f64_e32 v[24:25], v[24:25], v[74:75]
	s_delay_alu instid0(VALU_DEP_2) | instskip(NEXT) | instid1(VALU_DEP_2)
	v_mul_f64_e32 v[38:39], v[38:39], v[46:47]
	v_mul_f64_e32 v[74:75], v[48:49], v[24:25]
	s_delay_alu instid0(VALU_DEP_2) | instskip(NEXT) | instid1(VALU_DEP_2)
	v_mul_f64_e32 v[38:39], v[38:39], v[18:19]
	v_fma_f64 v[46:47], -v[54:55], v[74:75], v[48:49]
	s_delay_alu instid0(VALU_DEP_2) | instskip(SKIP_1) | instid1(VALU_DEP_3)
	v_mul_f64_e32 v[90:91], v[44:45], v[38:39]
	v_fmamk_f64 v[38:39], v[68:69], 0x3fb3333333333333, v[62:63]
	v_div_fmas_f64 v[24:25], v[46:47], v[24:25], v[74:75]
	s_delay_alu instid0(VALU_DEP_2) | instskip(NEXT) | instid1(VALU_DEP_2)
	v_fmac_f64_e32 v[38:39], 0x3fcccccccccccccd, v[90:91]
	v_div_fixup_f64 v[100:101], v[24:25], v[92:93], 1.0
	s_delay_alu instid0(VALU_DEP_1) | instskip(NEXT) | instid1(VALU_DEP_1)
	v_mul_f64_e64 v[24:25], v[100:101], -v[38:39]
	v_mul_f64_e32 v[74:75], v[44:45], v[24:25]
	s_delay_alu instid0(VALU_DEP_1) | instskip(NEXT) | instid1(VALU_DEP_1)
	v_fmac_f64_e32 v[84:85], 0x3ff3333333333333, v[74:75]
	v_cmp_ngt_f64_e64 s1, 0x41d00000, |v[84:85]|
	v_trig_preop_f64 v[46:47], |v[84:85]|, 0
	v_trig_preop_f64 v[38:39], |v[84:85]|, 1
	v_ldexp_f64 v[76:77], |v[84:85]|, 0xffffff80
	v_trig_preop_f64 v[24:25], |v[84:85]|, 2
	v_and_b32_e32 v2, 0x7fffffff, v85
	s_wait_xcnt 0x0
	s_and_saveexec_b32 s24, s1
	s_delay_alu instid0(SALU_CYCLE_1)
	s_xor_b32 s24, exec_lo, s24
	s_cbranch_execz .LBB0_108
; %bb.107:                              ;   in Loop: Header=BB0_90 Depth=2
	v_cmp_le_f64_e64 vcc_lo, 0x7b000000, |v[84:85]|
	s_delay_alu instid0(VALU_DEP_4) | instskip(NEXT) | instid1(VALU_DEP_1)
	v_dual_cndmask_b32 v79, v2, v77 :: v_dual_cndmask_b32 v78, v84, v76
	v_mul_f64_e32 v[80:81], v[46:47], v[78:79]
	v_mul_f64_e32 v[48:49], v[38:39], v[78:79]
	;; [unrolled: 1-line block ×3, first 2 shown]
	s_delay_alu instid0(VALU_DEP_3) | instskip(NEXT) | instid1(VALU_DEP_1)
	v_fma_f64 v[94:95], v[46:47], v[78:79], -v[80:81]
	v_add_f64_e32 v[96:97], v[48:49], v[94:95]
	s_delay_alu instid0(VALU_DEP_1) | instskip(SKIP_1) | instid1(VALU_DEP_2)
	v_add_f64_e64 v[106:107], v[96:97], -v[48:49]
	v_add_f64_e32 v[102:103], v[80:81], v[96:97]
	v_add_f64_e64 v[94:95], v[94:95], -v[106:107]
	v_add_f64_e64 v[106:107], v[96:97], -v[106:107]
	s_delay_alu instid0(VALU_DEP_3) | instskip(NEXT) | instid1(VALU_DEP_2)
	v_ldexp_f64 v[54:55], v[102:103], -2
	v_add_f64_e64 v[106:107], v[48:49], -v[106:107]
	s_delay_alu instid0(VALU_DEP_2) | instskip(SKIP_1) | instid1(VALU_DEP_3)
	v_fract_f64_e32 v[104:105], v[54:55]
	v_cmp_neq_f64_e64 vcc_lo, 0x7ff00000, |v[54:55]|
	v_add_f64_e32 v[94:95], v[94:95], v[106:107]
	v_fma_f64 v[106:107], v[38:39], v[78:79], -v[48:49]
	v_add_f64_e64 v[48:49], v[102:103], -v[80:81]
	v_fma_f64 v[78:79], v[24:25], v[78:79], -v[108:109]
	s_delay_alu instid0(VALU_DEP_3) | instskip(NEXT) | instid1(VALU_DEP_3)
	v_add_f64_e32 v[110:111], v[108:109], v[106:107]
	v_add_f64_e64 v[80:81], v[96:97], -v[48:49]
	s_delay_alu instid0(VALU_DEP_2) | instskip(NEXT) | instid1(VALU_DEP_1)
	v_add_f64_e32 v[112:113], v[110:111], v[94:95]
	v_add_f64_e64 v[96:97], v[112:113], -v[110:111]
	s_delay_alu instid0(VALU_DEP_3) | instskip(NEXT) | instid1(VALU_DEP_2)
	v_add_f64_e32 v[48:49], v[80:81], v[112:113]
	v_add_f64_e64 v[94:95], v[94:95], -v[96:97]
	v_add_f64_e64 v[96:97], v[112:113], -v[96:97]
	s_delay_alu instid0(VALU_DEP_3) | instskip(NEXT) | instid1(VALU_DEP_2)
	v_add_f64_e64 v[80:81], v[48:49], -v[80:81]
	v_add_f64_e64 v[96:97], v[110:111], -v[96:97]
	s_delay_alu instid0(VALU_DEP_2) | instskip(NEXT) | instid1(VALU_DEP_2)
	v_add_f64_e64 v[80:81], v[112:113], -v[80:81]
	v_add_f64_e32 v[94:95], v[94:95], v[96:97]
	v_add_f64_e64 v[96:97], v[110:111], -v[108:109]
	s_delay_alu instid0(VALU_DEP_1) | instskip(SKIP_1) | instid1(VALU_DEP_1)
	v_add_f64_e64 v[102:103], v[106:107], -v[96:97]
	v_add_f64_e64 v[96:97], v[110:111], -v[96:97]
	;; [unrolled: 1-line block ×3, first 2 shown]
	s_delay_alu instid0(VALU_DEP_1) | instskip(NEXT) | instid1(VALU_DEP_1)
	v_add_f64_e32 v[96:97], v[102:103], v[96:97]
	v_add_f64_e32 v[94:95], v[96:97], v[94:95]
	s_delay_alu instid0(VALU_DEP_1) | instskip(NEXT) | instid1(VALU_DEP_1)
	v_add_f64_e32 v[78:79], v[78:79], v[94:95]
	v_add_f64_e32 v[78:79], v[80:81], v[78:79]
	v_ldexp_f64 v[80:81], v[104:105], 2
	s_delay_alu instid0(VALU_DEP_1) | instskip(NEXT) | instid1(VALU_DEP_1)
	v_dual_cndmask_b32 v55, 0, v81 :: v_dual_cndmask_b32 v54, 0, v80
	v_add_f64_e32 v[80:81], v[48:49], v[54:55]
	s_delay_alu instid0(VALU_DEP_1) | instskip(SKIP_1) | instid1(VALU_DEP_1)
	v_cmp_gt_f64_e32 vcc_lo, 0, v[80:81]
	v_cndmask_b32_e64 v27, 0, 0x40100000, vcc_lo
	v_add_f64_e32 v[54:55], v[54:55], v[26:27]
	s_delay_alu instid0(VALU_DEP_1) | instskip(NEXT) | instid1(VALU_DEP_1)
	v_add_f64_e32 v[80:81], v[48:49], v[54:55]
	v_cvt_i32_f64_e32 v1, v[80:81]
	s_delay_alu instid0(VALU_DEP_1) | instskip(NEXT) | instid1(VALU_DEP_1)
	v_cvt_f64_i32_e32 v[80:81], v1
	v_add_f64_e64 v[54:55], v[54:55], -v[80:81]
	s_delay_alu instid0(VALU_DEP_1) | instskip(NEXT) | instid1(VALU_DEP_1)
	v_add_f64_e32 v[80:81], v[48:49], v[54:55]
	v_add_f64_e64 v[54:55], v[80:81], -v[54:55]
	v_cmp_le_f64_e32 vcc_lo, 0.5, v[80:81]
	s_delay_alu instid0(VALU_DEP_2) | instskip(SKIP_2) | instid1(VALU_DEP_2)
	v_add_f64_e64 v[48:49], v[48:49], -v[54:55]
	v_cndmask_b32_e64 v27, 0, 0x3ff00000, vcc_lo
	v_add_co_ci_u32_e64 v1, null, 0, v1, vcc_lo
	v_add_f64_e64 v[54:55], v[80:81], -v[26:27]
	s_delay_alu instid0(VALU_DEP_4) | instskip(NEXT) | instid1(VALU_DEP_1)
	v_add_f64_e32 v[48:49], v[78:79], v[48:49]
	v_add_f64_e32 v[78:79], v[54:55], v[48:49]
	s_delay_alu instid0(VALU_DEP_1) | instskip(NEXT) | instid1(VALU_DEP_1)
	v_add_f64_e64 v[54:55], v[78:79], -v[54:55]
	v_add_f64_e64 v[48:49], v[48:49], -v[54:55]
	v_mul_f64_e32 v[54:55], 0x3ff921fb54442d18, v[78:79]
	s_delay_alu instid0(VALU_DEP_1) | instskip(NEXT) | instid1(VALU_DEP_1)
	v_fma_f64 v[80:81], v[78:79], s[10:11], -v[54:55]
	v_fmac_f64_e32 v[80:81], 0x3c91a62633145c07, v[78:79]
	s_delay_alu instid0(VALU_DEP_1) | instskip(NEXT) | instid1(VALU_DEP_1)
	v_fmac_f64_e32 v[80:81], 0x3ff921fb54442d18, v[48:49]
	v_add_f64_e32 v[110:111], v[54:55], v[80:81]
	s_delay_alu instid0(VALU_DEP_1) | instskip(NEXT) | instid1(VALU_DEP_1)
	v_add_f64_e64 v[48:49], v[110:111], -v[54:55]
	v_add_f64_e64 v[114:115], v[80:81], -v[48:49]
.LBB0_108:                              ;   in Loop: Header=BB0_90 Depth=2
	s_or_saveexec_b32 s24, s24
	v_mul_f64_e64 v[48:49], |v[84:85]|, s[12:13]
	s_delay_alu instid0(VALU_DEP_1)
	v_rndne_f64_e32 v[78:79], v[48:49]
	s_xor_b32 exec_lo, exec_lo, s24
	s_cbranch_execz .LBB0_110
; %bb.109:                              ;   in Loop: Header=BB0_90 Depth=2
	s_delay_alu instid0(VALU_DEP_1) | instskip(SKIP_2) | instid1(VALU_DEP_2)
	v_fma_f64 v[48:49], v[78:79], s[14:15], |v[84:85]|
	v_mul_f64_e32 v[54:55], 0xbc91a62633145c00, v[78:79]
	v_cvt_i32_f64_e32 v1, v[78:79]
	v_add_f64_e32 v[80:81], v[48:49], v[54:55]
	s_delay_alu instid0(VALU_DEP_1) | instskip(SKIP_1) | instid1(VALU_DEP_1)
	v_add_f64_e64 v[94:95], v[48:49], -v[80:81]
	v_fmamk_f64 v[48:49], v[78:79], 0xbc91a62633145c00, v[48:49]
	v_add_f64_e64 v[80:81], v[80:81], -v[48:49]
	s_delay_alu instid0(VALU_DEP_3) | instskip(SKIP_1) | instid1(VALU_DEP_2)
	v_add_f64_e32 v[94:95], v[94:95], v[54:55]
	v_fmamk_f64 v[54:55], v[78:79], 0x3c91a62633145c00, v[54:55]
	v_add_f64_e32 v[80:81], v[80:81], v[94:95]
	s_delay_alu instid0(VALU_DEP_1) | instskip(NEXT) | instid1(VALU_DEP_1)
	v_add_f64_e64 v[54:55], v[80:81], -v[54:55]
	v_fmac_f64_e32 v[54:55], 0xb97b839a252049c0, v[78:79]
	s_delay_alu instid0(VALU_DEP_1) | instskip(NEXT) | instid1(VALU_DEP_1)
	v_add_f64_e32 v[110:111], v[48:49], v[54:55]
	v_add_f64_e64 v[48:49], v[110:111], -v[48:49]
	s_delay_alu instid0(VALU_DEP_1)
	v_add_f64_e64 v[114:115], v[54:55], -v[48:49]
.LBB0_110:                              ;   in Loop: Header=BB0_90 Depth=2
	s_or_b32 exec_lo, exec_lo, s24
                                        ; implicit-def: $vgpr80
                                        ; implicit-def: $vgpr48_vgpr49
                                        ; implicit-def: $vgpr54_vgpr55
	s_and_saveexec_b32 s24, s1
	s_delay_alu instid0(SALU_CYCLE_1)
	s_xor_b32 s1, exec_lo, s24
	s_cbranch_execz .LBB0_112
; %bb.111:                              ;   in Loop: Header=BB0_90 Depth=2
	v_cmp_le_f64_e64 vcc_lo, 0x7b000000, |v[84:85]|
	v_dual_cndmask_b32 v49, v2, v77 :: v_dual_cndmask_b32 v48, v84, v76
	s_delay_alu instid0(VALU_DEP_1) | instskip(SKIP_1) | instid1(VALU_DEP_2)
	v_mul_f64_e32 v[76:77], v[46:47], v[48:49]
	v_mul_f64_e32 v[54:55], v[38:39], v[48:49]
	v_fma_f64 v[78:79], v[46:47], v[48:49], -v[76:77]
	s_delay_alu instid0(VALU_DEP_1) | instskip(NEXT) | instid1(VALU_DEP_1)
	v_add_f64_e32 v[80:81], v[54:55], v[78:79]
	v_add_f64_e32 v[94:95], v[76:77], v[80:81]
	s_delay_alu instid0(VALU_DEP_1) | instskip(NEXT) | instid1(VALU_DEP_1)
	v_ldexp_f64 v[46:47], v[94:95], -2
	v_cmp_neq_f64_e64 vcc_lo, 0x7ff00000, |v[46:47]|
	v_add_f64_e64 v[102:103], v[80:81], -v[54:55]
	v_fract_f64_e32 v[96:97], v[46:47]
	s_delay_alu instid0(VALU_DEP_2) | instskip(SKIP_1) | instid1(VALU_DEP_1)
	v_add_f64_e64 v[78:79], v[78:79], -v[102:103]
	v_add_f64_e64 v[102:103], v[80:81], -v[102:103]
	;; [unrolled: 1-line block ×3, first 2 shown]
	v_fma_f64 v[54:55], v[38:39], v[48:49], -v[54:55]
	v_add_f64_e64 v[38:39], v[94:95], -v[76:77]
	s_delay_alu instid0(VALU_DEP_3) | instskip(SKIP_1) | instid1(VALU_DEP_1)
	v_add_f64_e32 v[78:79], v[78:79], v[102:103]
	v_mul_f64_e32 v[102:103], v[24:25], v[48:49]
	v_add_f64_e32 v[104:105], v[102:103], v[54:55]
	v_fma_f64 v[24:25], v[24:25], v[48:49], -v[102:103]
	v_ldexp_f64 v[48:49], v[96:97], 2
	s_delay_alu instid0(VALU_DEP_1) | instskip(NEXT) | instid1(VALU_DEP_2)
	v_dual_add_f64 v[106:107], v[104:105], v[78:79] :: v_dual_cndmask_b32 v47, 0, v49, vcc_lo
	v_dual_add_f64 v[76:77], v[80:81], -v[38:39] :: v_dual_cndmask_b32 v46, 0, v48, vcc_lo
	s_delay_alu instid0(VALU_DEP_2) | instskip(NEXT) | instid1(VALU_DEP_2)
	v_add_f64_e64 v[80:81], v[106:107], -v[104:105]
	v_add_f64_e32 v[38:39], v[76:77], v[106:107]
	s_delay_alu instid0(VALU_DEP_2) | instskip(SKIP_1) | instid1(VALU_DEP_3)
	v_add_f64_e64 v[78:79], v[78:79], -v[80:81]
	v_add_f64_e64 v[80:81], v[106:107], -v[80:81]
	v_add_f64_e32 v[48:49], v[38:39], v[46:47]
	v_add_f64_e64 v[76:77], v[38:39], -v[76:77]
	s_delay_alu instid0(VALU_DEP_3) | instskip(NEXT) | instid1(VALU_DEP_3)
	v_add_f64_e64 v[80:81], v[104:105], -v[80:81]
	v_cmp_gt_f64_e32 vcc_lo, 0, v[48:49]
	s_delay_alu instid0(VALU_DEP_3) | instskip(NEXT) | instid1(VALU_DEP_3)
	v_add_f64_e64 v[76:77], v[106:107], -v[76:77]
	v_add_f64_e32 v[78:79], v[78:79], v[80:81]
	v_add_f64_e64 v[80:81], v[104:105], -v[102:103]
	v_cndmask_b32_e64 v27, 0, 0x40100000, vcc_lo
	s_delay_alu instid0(VALU_DEP_1) | instskip(NEXT) | instid1(VALU_DEP_3)
	v_add_f64_e32 v[46:47], v[46:47], v[26:27]
	v_add_f64_e64 v[54:55], v[54:55], -v[80:81]
	v_add_f64_e64 v[80:81], v[104:105], -v[80:81]
	s_delay_alu instid0(VALU_DEP_3) | instskip(NEXT) | instid1(VALU_DEP_2)
	v_add_f64_e32 v[48:49], v[38:39], v[46:47]
	v_add_f64_e64 v[80:81], v[102:103], -v[80:81]
	s_delay_alu instid0(VALU_DEP_2) | instskip(NEXT) | instid1(VALU_DEP_2)
	v_cvt_i32_f64_e32 v2, v[48:49]
	v_add_f64_e32 v[54:55], v[54:55], v[80:81]
	s_delay_alu instid0(VALU_DEP_2) | instskip(NEXT) | instid1(VALU_DEP_2)
	v_cvt_f64_i32_e32 v[48:49], v2
	v_add_f64_e32 v[54:55], v[54:55], v[78:79]
                                        ; implicit-def: $vgpr78_vgpr79
	s_delay_alu instid0(VALU_DEP_2) | instskip(NEXT) | instid1(VALU_DEP_2)
	v_add_f64_e64 v[46:47], v[46:47], -v[48:49]
	v_add_f64_e32 v[24:25], v[24:25], v[54:55]
	s_delay_alu instid0(VALU_DEP_2) | instskip(NEXT) | instid1(VALU_DEP_2)
	v_add_f64_e32 v[48:49], v[38:39], v[46:47]
	v_add_f64_e32 v[24:25], v[76:77], v[24:25]
	s_delay_alu instid0(VALU_DEP_2) | instskip(SKIP_1) | instid1(VALU_DEP_2)
	v_add_f64_e64 v[46:47], v[48:49], -v[46:47]
	v_cmp_le_f64_e32 vcc_lo, 0.5, v[48:49]
	v_add_f64_e64 v[38:39], v[38:39], -v[46:47]
	v_cndmask_b32_e64 v27, 0, 0x3ff00000, vcc_lo
	v_add_co_ci_u32_e64 v80, null, 0, v2, vcc_lo
	s_delay_alu instid0(VALU_DEP_3) | instskip(NEXT) | instid1(VALU_DEP_3)
	v_add_f64_e32 v[24:25], v[24:25], v[38:39]
	v_add_f64_e64 v[38:39], v[48:49], -v[26:27]
	s_delay_alu instid0(VALU_DEP_1) | instskip(NEXT) | instid1(VALU_DEP_1)
	v_add_f64_e32 v[46:47], v[38:39], v[24:25]
	v_add_f64_e64 v[38:39], v[46:47], -v[38:39]
	s_delay_alu instid0(VALU_DEP_1) | instskip(SKIP_1) | instid1(VALU_DEP_1)
	v_add_f64_e64 v[24:25], v[24:25], -v[38:39]
	v_mul_f64_e32 v[38:39], 0x3ff921fb54442d18, v[46:47]
	v_fma_f64 v[54:55], v[46:47], s[10:11], -v[38:39]
	s_delay_alu instid0(VALU_DEP_1) | instskip(NEXT) | instid1(VALU_DEP_1)
	v_fmac_f64_e32 v[54:55], 0x3c91a62633145c07, v[46:47]
	v_fmac_f64_e32 v[54:55], 0x3ff921fb54442d18, v[24:25]
	s_delay_alu instid0(VALU_DEP_1) | instskip(NEXT) | instid1(VALU_DEP_1)
	v_add_f64_e32 v[48:49], v[38:39], v[54:55]
	v_add_f64_e64 v[24:25], v[48:49], -v[38:39]
	s_delay_alu instid0(VALU_DEP_1)
	v_add_f64_e64 v[54:55], v[54:55], -v[24:25]
	s_and_not1_saveexec_b32 s1, s1
	s_cbranch_execnz .LBB0_113
	s_branch .LBB0_114
.LBB0_112:                              ;   in Loop: Header=BB0_90 Depth=2
	s_and_not1_saveexec_b32 s1, s1
	s_cbranch_execz .LBB0_114
.LBB0_113:                              ;   in Loop: Header=BB0_90 Depth=2
	s_delay_alu instid0(VALU_DEP_1) | instskip(SKIP_2) | instid1(VALU_DEP_2)
	v_fma_f64 v[24:25], v[78:79], s[14:15], |v[84:85]|
	v_mul_f64_e32 v[38:39], 0xbc91a62633145c00, v[78:79]
	v_cvt_i32_f64_e32 v80, v[78:79]
	v_add_f64_e32 v[46:47], v[24:25], v[38:39]
	s_delay_alu instid0(VALU_DEP_1) | instskip(SKIP_1) | instid1(VALU_DEP_1)
	v_add_f64_e64 v[48:49], v[24:25], -v[46:47]
	v_fmamk_f64 v[24:25], v[78:79], 0xbc91a62633145c00, v[24:25]
	v_add_f64_e64 v[46:47], v[46:47], -v[24:25]
	s_delay_alu instid0(VALU_DEP_3) | instskip(SKIP_1) | instid1(VALU_DEP_2)
	v_add_f64_e32 v[48:49], v[48:49], v[38:39]
	v_fmamk_f64 v[38:39], v[78:79], 0x3c91a62633145c00, v[38:39]
	v_add_f64_e32 v[46:47], v[46:47], v[48:49]
	s_delay_alu instid0(VALU_DEP_1) | instskip(NEXT) | instid1(VALU_DEP_1)
	v_add_f64_e64 v[38:39], v[46:47], -v[38:39]
	v_fmac_f64_e32 v[38:39], 0xb97b839a252049c0, v[78:79]
	s_delay_alu instid0(VALU_DEP_1) | instskip(NEXT) | instid1(VALU_DEP_1)
	v_add_f64_e32 v[48:49], v[24:25], v[38:39]
	v_add_f64_e64 v[24:25], v[48:49], -v[24:25]
	s_delay_alu instid0(VALU_DEP_1)
	v_add_f64_e64 v[54:55], v[38:39], -v[24:25]
.LBB0_114:                              ;   in Loop: Header=BB0_90 Depth=2
	s_or_b32 exec_lo, exec_lo, s1
	scratch_load_b64 v[4:5], off, off       ; 8-byte Folded Reload
	v_mul_f64_e32 v[22:23], v[52:53], v[22:23]
	v_dual_add_f64 v[38:39], v[14:15], v[14:15] :: v_dual_bitop2_b32 v2, 1, v0 bitop3:0x40
	v_dual_add_f64 v[14:15], -1.0, v[14:15] :: v_dual_lshlrev_b32 v0, 30, v0
	v_fmamk_f64 v[24:25], v[72:73], 0x3fb3333333333333, v[28:29]
	v_fmamk_f64 v[104:105], v[70:71], 0x3fd3333333333333, v[36:37]
	;; [unrolled: 1-line block ×3, first 2 shown]
                                        ; implicit-def: $vgpr118_vgpr119
                                        ; implicit-def: $vgpr120_vgpr121
	s_delay_alu instid0(VALU_DEP_4) | instskip(NEXT) | instid1(VALU_DEP_3)
	v_xor_b32_e32 v0, v0, v3
	v_fmac_f64_e32 v[104:105], 0xbfeccccccccccccd, v[88:89]
	s_delay_alu instid0(VALU_DEP_3) | instskip(SKIP_1) | instid1(VALU_DEP_1)
	v_fmac_f64_e32 v[46:47], 0xbfeccccccccccccd, v[90:91]
	v_div_scale_f64 v[52:53], null, v[22:23], v[22:23], 1.0
	v_rcp_f64_e32 v[76:77], v[52:53]
	v_nop
	s_delay_alu instid0(TRANS32_DEP_1) | instskip(NEXT) | instid1(VALU_DEP_1)
	v_fma_f64 v[78:79], -v[52:53], v[76:77], 1.0
	v_fmac_f64_e32 v[76:77], v[76:77], v[78:79]
	s_delay_alu instid0(VALU_DEP_1) | instskip(NEXT) | instid1(VALU_DEP_1)
	v_fma_f64 v[78:79], -v[52:53], v[76:77], 1.0
	v_fmac_f64_e32 v[76:77], v[76:77], v[78:79]
	v_div_scale_f64 v[78:79], vcc_lo, 1.0, v[22:23], 1.0
	s_delay_alu instid0(VALU_DEP_1) | instskip(NEXT) | instid1(VALU_DEP_1)
	v_mul_f64_e32 v[94:95], v[78:79], v[76:77]
	v_fma_f64 v[52:53], -v[52:53], v[94:95], v[78:79]
	s_delay_alu instid0(VALU_DEP_1)
	v_div_fmas_f64 v[52:53], v[52:53], v[76:77], v[94:95]
	v_cmp_eq_u32_e32 vcc_lo, 0, v2
	v_add_f64_e32 v[16:17], v[8:9], v[16:17]
	s_wait_loadcnt 0x0
	v_fmamk_f64 v[96:97], v[42:43], 0xbfca12f684bda12f, v[4:5]
	scratch_load_b64 v[4:5], off, off offset:8 ; 8-byte Folded Reload
	v_fmac_f64_e32 v[96:97], 0x40040000, v[82:83]
	v_div_fixup_f64 v[22:23], v[52:53], v[22:23], 1.0
	s_delay_alu instid0(VALU_DEP_2) | instskip(SKIP_2) | instid1(VALU_DEP_1)
	v_fmac_f64_e32 v[96:97], 0xc004bda12f684bda, v[74:75]
	s_wait_loadcnt 0x0
	v_mul_f64_e32 v[52:53], v[4:5], v[14:15]
	v_fma_f64 v[16:17], v[38:39], v[16:17], -v[52:53]
	v_add_f64_e32 v[38:39], v[50:51], v[50:51]
	s_delay_alu instid0(VALU_DEP_2) | instskip(NEXT) | instid1(VALU_DEP_2)
	v_add_f64_e64 v[16:17], v[16:17], -v[66:67]
	v_mul_f64_e32 v[38:39], v[50:51], v[38:39]
	s_delay_alu instid0(VALU_DEP_1) | instskip(NEXT) | instid1(VALU_DEP_1)
	v_mul_f64_e32 v[14:15], v[14:15], v[38:39]
	v_mul_f64_e32 v[14:15], v[14:15], v[18:19]
	s_delay_alu instid0(VALU_DEP_1) | instskip(SKIP_2) | instid1(VALU_DEP_3)
	v_fma_f64 v[14:15], v[16:17], v[22:23], -v[14:15]
	v_mul_f64_e32 v[16:17], v[6:7], v[6:7]
	v_mul_f64_e32 v[22:23], 0.5, v[20:21]
	v_mul_f64_e64 v[94:95], v[44:45], -v[14:15]
	s_delay_alu instid0(VALU_DEP_3) | instskip(SKIP_3) | instid1(VALU_DEP_3)
	v_mul_f64_e64 v[14:15], v[6:7], -v[16:17]
	v_fmamk_f64 v[18:19], v[16:17], 0x3de5e0b2f9a43bb8, v[126:127]
	v_fmamk_f64 v[50:51], v[16:17], 0xbda907db46cc5e42, v[64:65]
	v_mul_f64_e32 v[38:39], v[16:17], v[16:17]
	v_fmaak_f64 v[18:19], v[16:17], v[18:19], 0x3ec71de3796cde01
	s_delay_alu instid0(VALU_DEP_3) | instskip(NEXT) | instid1(VALU_DEP_2)
	v_fmaak_f64 v[50:51], v[16:17], v[50:51], 0xbe927e4fa17f65f6
	v_fmaak_f64 v[18:19], v[16:17], v[18:19], 0xbf2a01a019e83e5c
	s_delay_alu instid0(VALU_DEP_2) | instskip(NEXT) | instid1(VALU_DEP_2)
	v_fmaak_f64 v[50:51], v[16:17], v[50:51], 0x3efa01a019f4ec90
	v_fmaak_f64 v[18:19], v[16:17], v[18:19], 0x3f81111111110bb3
	s_delay_alu instid0(VALU_DEP_2) | instskip(SKIP_1) | instid1(VALU_DEP_3)
	v_fmaak_f64 v[50:51], v[16:17], v[50:51], 0xbf56c16c16c16967
	v_fmac_f64_e32 v[24:25], 0x3fcccccccccccccd, v[94:95]
	v_fmac_f64_e32 v[22:23], v[14:15], v[18:19]
	s_delay_alu instid0(VALU_DEP_1) | instskip(NEXT) | instid1(VALU_DEP_1)
	v_fma_f64 v[18:19], v[16:17], v[22:23], -v[20:21]
	v_fmac_f64_e32 v[18:19], 0xbfc5555555555555, v[14:15]
	s_delay_alu instid0(VALU_DEP_1) | instskip(SKIP_2) | instid1(VALU_DEP_2)
	v_add_f64_e64 v[14:15], v[6:7], -v[18:19]
	v_mul_f64_e32 v[18:19], 0.5, v[16:17]
	v_fmaak_f64 v[16:17], v[16:17], v[50:51], 0x3fa5555555555555
	v_add_f64_e64 v[22:23], -v[18:19], 1.0
	s_delay_alu instid0(VALU_DEP_1) | instskip(NEXT) | instid1(VALU_DEP_1)
	v_add_f64_e64 v[50:51], -v[22:23], 1.0
	v_add_f64_e64 v[18:19], v[50:51], -v[18:19]
	s_delay_alu instid0(VALU_DEP_1) | instskip(NEXT) | instid1(VALU_DEP_1)
	v_fma_f64 v[6:7], v[6:7], -v[20:21], v[18:19]
	v_fmac_f64_e32 v[6:7], v[38:39], v[16:17]
	s_delay_alu instid0(VALU_DEP_1) | instskip(NEXT) | instid1(VALU_DEP_1)
	v_add_f64_e32 v[6:7], v[22:23], v[6:7]
	v_dual_cndmask_b32 v4, v7, v15, vcc_lo :: v_dual_cndmask_b32 v2, v6, v14, vcc_lo
	s_delay_alu instid0(VALU_DEP_1) | instskip(NEXT) | instid1(VALU_DEP_2)
	v_bitop3_b32 v0, v4, v0, 0x80000000 bitop3:0x78
	v_dual_cndmask_b32 v2, 0, v2, s0 :: v_dual_bitop2_b32 v4, 1, v80 bitop3:0x40
	s_delay_alu instid0(VALU_DEP_2) | instskip(SKIP_1) | instid1(VALU_DEP_2)
	v_cndmask_b32_e64 v3, 0x7ff80000, v0, s0
	v_cmp_class_f64_e64 s0, v[84:85], 0x1f8
	v_mul_f64_e32 v[6:7], v[2:3], v[2:3]
	v_cmp_gt_f64_e32 vcc_lo, s[16:17], v[2:3]
	s_delay_alu instid0(VALU_DEP_2) | instskip(NEXT) | instid1(VALU_DEP_3)
	v_cndmask_b32_e64 v103, v7, 0x3c9cd2b2, vcc_lo
	v_cndmask_b32_e64 v102, v6, 0x97d889bc, vcc_lo
	;; [unrolled: 1-line block ×4, first 2 shown]
	v_fma_f64 v[6:7], -2.0, v[86:87], v[98:99]
	s_delay_alu instid0(VALU_DEP_4) | instskip(NEXT) | instid1(VALU_DEP_3)
	v_mul_f64_e32 v[16:17], v[102:103], v[102:103]
	v_mul_f64_e64 v[2:3], -v[2:3], v[40:41]
	s_delay_alu instid0(VALU_DEP_3) | instskip(NEXT) | instid1(VALU_DEP_3)
	v_add_f64_e32 v[6:7], v[8:9], v[6:7]
	v_div_scale_f64 v[18:19], null, v[16:17], v[16:17], v[34:35]
	s_delay_alu instid0(VALU_DEP_2) | instskip(NEXT) | instid1(VALU_DEP_2)
	v_mul_f64_e64 v[14:15], v[6:7], -v[24:25]
	v_rcp_f64_e32 v[20:21], v[18:19]
	s_delay_alu instid0(VALU_DEP_1) | instskip(NEXT) | instid1(TRANS32_DEP_1)
	v_mul_f64_e32 v[14:15], v[14:15], v[100:101]
	v_fma_f64 v[22:23], -v[18:19], v[20:21], 1.0
	s_delay_alu instid0(VALU_DEP_2) | instskip(SKIP_1) | instid1(VALU_DEP_3)
	v_mul_f64_e32 v[78:79], v[44:45], v[14:15]
	v_mul_f64_e32 v[14:15], v[48:49], v[48:49]
	v_fmac_f64_e32 v[20:21], v[20:21], v[22:23]
	s_delay_alu instid0(VALU_DEP_3) | instskip(NEXT) | instid1(VALU_DEP_2)
	v_fmac_f64_e32 v[104:105], 0x3ff3333333333333, v[78:79]
	v_fma_f64 v[22:23], -v[18:19], v[20:21], 1.0
	s_delay_alu instid0(VALU_DEP_2) | instskip(NEXT) | instid1(VALU_DEP_2)
	v_mul_f64_e32 v[106:107], v[104:105], v[104:105]
	v_fmac_f64_e32 v[20:21], v[20:21], v[22:23]
	v_div_scale_f64 v[22:23], vcc_lo, v[34:35], v[16:17], v[34:35]
	s_delay_alu instid0(VALU_DEP_1) | instskip(NEXT) | instid1(VALU_DEP_1)
	v_mul_f64_e32 v[38:39], v[22:23], v[20:21]
	v_fma_f64 v[18:19], -v[18:19], v[38:39], v[22:23]
	s_delay_alu instid0(VALU_DEP_1) | instskip(SKIP_2) | instid1(VALU_DEP_2)
	v_div_fmas_f64 v[18:19], v[18:19], v[20:21], v[38:39]
	v_fmamk_f64 v[20:21], v[14:15], 0xbda907db46cc5e42, v[64:65]
	v_cmp_eq_u32_e32 vcc_lo, 0, v4
	v_fmaak_f64 v[20:21], v[14:15], v[20:21], 0xbe927e4fa17f65f6
	s_delay_alu instid0(VALU_DEP_1) | instskip(NEXT) | instid1(VALU_DEP_1)
	v_fmaak_f64 v[20:21], v[14:15], v[20:21], 0x3efa01a019f4ec90
	v_fmaak_f64 v[20:21], v[14:15], v[20:21], 0xbf56c16c16c16967
	s_delay_alu instid0(VALU_DEP_1) | instskip(SKIP_1) | instid1(VALU_DEP_1)
	v_fmaak_f64 v[20:21], v[14:15], v[20:21], 0x3fa5555555555555
	v_div_fixup_f64 v[16:17], v[18:19], v[16:17], v[34:35]
	v_add_f64_e64 v[16:17], v[16:17], -v[8:9]
	s_delay_alu instid0(VALU_DEP_1) | instskip(NEXT) | instid1(VALU_DEP_1)
	v_mul_f64_e32 v[2:3], v[16:17], v[2:3]
	v_mul_f64_e32 v[2:3], v[2:3], v[100:101]
	s_delay_alu instid0(VALU_DEP_1) | instskip(SKIP_1) | instid1(VALU_DEP_2)
	v_mul_f64_e32 v[76:77], v[44:45], v[2:3]
	v_mul_f64_e32 v[2:3], 0.5, v[14:15]
	v_fmac_f64_e32 v[46:47], 0x3ff3333333333333, v[76:77]
	s_delay_alu instid0(VALU_DEP_2) | instskip(NEXT) | instid1(VALU_DEP_1)
	v_add_f64_e64 v[16:17], -v[2:3], 1.0
	v_add_f64_e64 v[18:19], -v[16:17], 1.0
	s_delay_alu instid0(VALU_DEP_1) | instskip(SKIP_1) | instid1(VALU_DEP_2)
	v_add_f64_e64 v[2:3], v[18:19], -v[2:3]
	v_mul_f64_e32 v[18:19], v[14:15], v[14:15]
	v_fma_f64 v[2:3], v[48:49], -v[54:55], v[2:3]
	s_delay_alu instid0(VALU_DEP_1) | instskip(SKIP_1) | instid1(VALU_DEP_2)
	v_fmac_f64_e32 v[2:3], v[18:19], v[20:21]
	v_mul_f64_e32 v[20:21], 0.5, v[54:55]
	v_add_f64_e32 v[2:3], v[16:17], v[2:3]
	v_fmamk_f64 v[16:17], v[14:15], 0x3de5e0b2f9a43bb8, v[126:127]
	s_delay_alu instid0(VALU_DEP_1) | instskip(NEXT) | instid1(VALU_DEP_1)
	v_fmaak_f64 v[16:17], v[14:15], v[16:17], 0x3ec71de3796cde01
	v_fmaak_f64 v[16:17], v[14:15], v[16:17], 0xbf2a01a019e83e5c
	s_delay_alu instid0(VALU_DEP_1) | instskip(SKIP_1) | instid1(VALU_DEP_1)
	v_fmaak_f64 v[18:19], v[14:15], v[16:17], 0x3f81111111110bb3
	v_mul_f64_e64 v[16:17], v[48:49], -v[14:15]
	v_fmac_f64_e32 v[20:21], v[16:17], v[18:19]
	s_delay_alu instid0(VALU_DEP_1) | instskip(NEXT) | instid1(VALU_DEP_1)
	v_fma_f64 v[14:15], v[14:15], v[20:21], -v[54:55]
	v_fmac_f64_e32 v[14:15], 0xbfc5555555555555, v[16:17]
	s_delay_alu instid0(VALU_DEP_1) | instskip(NEXT) | instid1(VALU_DEP_1)
	v_add_f64_e64 v[14:15], v[48:49], -v[14:15]
	v_xor_b32_e32 v0, 0x80000000, v15
	s_delay_alu instid0(VALU_DEP_1) | instskip(NEXT) | instid1(VALU_DEP_1)
	v_dual_cndmask_b32 v2, v14, v2, vcc_lo :: v_dual_cndmask_b32 v0, v0, v3, vcc_lo
	v_dual_lshlrev_b32 v3, 30, v80 :: v_dual_cndmask_b32 v14, 0, v2, s0
	s_delay_alu instid0(VALU_DEP_1) | instskip(NEXT) | instid1(VALU_DEP_1)
	v_bitop3_b32 v0, v0, v3, 0x80000000 bitop3:0x78
	v_cndmask_b32_e64 v15, 0x7ff80000, v0, s0
                                        ; implicit-def: $vgpr0
	s_delay_alu instid0(VALU_DEP_1) | instskip(NEXT) | instid1(VALU_DEP_1)
	v_mul_f64_e32 v[2:3], v[14:15], v[14:15]
	v_fma_f64 v[108:109], v[8:9], v[2:3], v[106:107]
	s_delay_alu instid0(VALU_DEP_1) | instskip(NEXT) | instid1(VALU_DEP_1)
	v_div_scale_f64 v[2:3], null, v[108:109], v[108:109], 1.0
	v_rcp_f64_e32 v[16:17], v[2:3]
	v_nop
	s_delay_alu instid0(TRANS32_DEP_1) | instskip(NEXT) | instid1(VALU_DEP_1)
	v_fma_f64 v[18:19], -v[2:3], v[16:17], 1.0
	v_fmac_f64_e32 v[16:17], v[16:17], v[18:19]
	s_delay_alu instid0(VALU_DEP_1) | instskip(NEXT) | instid1(VALU_DEP_1)
	v_fma_f64 v[18:19], -v[2:3], v[16:17], 1.0
	v_fmac_f64_e32 v[16:17], v[16:17], v[18:19]
	v_div_scale_f64 v[18:19], vcc_lo, 1.0, v[108:109], 1.0
	s_delay_alu instid0(VALU_DEP_1) | instskip(NEXT) | instid1(VALU_DEP_1)
	v_mul_f64_e32 v[20:21], v[18:19], v[16:17]
	v_fma_f64 v[2:3], -v[2:3], v[20:21], v[18:19]
	s_delay_alu instid0(VALU_DEP_1) | instskip(NEXT) | instid1(VALU_DEP_1)
	v_div_fmas_f64 v[2:3], v[2:3], v[16:17], v[20:21]
	v_div_fixup_f64 v[126:127], v[2:3], v[108:109], 1.0
	s_delay_alu instid0(VALU_DEP_1) | instskip(NEXT) | instid1(VALU_DEP_1)
	v_mul_f64_e64 v[2:3], v[126:127], -v[46:47]
	v_mul_f64_e32 v[80:81], v[44:45], v[2:3]
	s_delay_alu instid0(VALU_DEP_1) | instskip(NEXT) | instid1(VALU_DEP_1)
	v_fmac_f64_e32 v[96:97], 0x3ff4bda12f684bda, v[80:81]
	v_cmp_ngt_f64_e64 s1, 0x41d00000, |v[96:97]|
	v_trig_preop_f64 v[18:19], |v[96:97]|, 0
	v_trig_preop_f64 v[16:17], |v[96:97]|, 1
	v_ldexp_f64 v[38:39], |v[96:97]|, 0xffffff80
	v_trig_preop_f64 v[2:3], |v[96:97]|, 2
	v_and_b32_e32 v46, 0x7fffffff, v97
	s_wait_xcnt 0x0
	s_and_saveexec_b32 s24, s1
	s_delay_alu instid0(SALU_CYCLE_1)
	s_xor_b32 s24, exec_lo, s24
	s_cbranch_execz .LBB0_116
; %bb.115:                              ;   in Loop: Header=BB0_90 Depth=2
	v_cmp_le_f64_e64 vcc_lo, 0x7b000000, |v[96:97]|
	s_delay_alu instid0(VALU_DEP_4) | instskip(NEXT) | instid1(VALU_DEP_1)
	v_dual_cndmask_b32 v41, v46, v39 :: v_dual_cndmask_b32 v40, v96, v38
	v_mul_f64_e32 v[48:49], v[18:19], v[40:41]
	v_mul_f64_e32 v[20:21], v[16:17], v[40:41]
	;; [unrolled: 1-line block ×3, first 2 shown]
	s_delay_alu instid0(VALU_DEP_3) | instskip(NEXT) | instid1(VALU_DEP_1)
	v_fma_f64 v[50:51], v[18:19], v[40:41], -v[48:49]
	v_add_f64_e32 v[52:53], v[20:21], v[50:51]
	s_delay_alu instid0(VALU_DEP_1) | instskip(SKIP_1) | instid1(VALU_DEP_2)
	v_add_f64_e64 v[116:117], v[52:53], -v[20:21]
	v_add_f64_e32 v[54:55], v[48:49], v[52:53]
	v_add_f64_e64 v[50:51], v[50:51], -v[116:117]
	v_add_f64_e64 v[116:117], v[52:53], -v[116:117]
	s_delay_alu instid0(VALU_DEP_3) | instskip(NEXT) | instid1(VALU_DEP_2)
	v_ldexp_f64 v[22:23], v[54:55], -2
	v_add_f64_e64 v[116:117], v[20:21], -v[116:117]
	s_delay_alu instid0(VALU_DEP_2) | instskip(SKIP_1) | instid1(VALU_DEP_3)
	v_cmp_neq_f64_e64 vcc_lo, 0x7ff00000, |v[22:23]|
	v_fract_f64_e32 v[112:113], v[22:23]
	v_add_f64_e32 v[50:51], v[50:51], v[116:117]
	v_fma_f64 v[116:117], v[16:17], v[40:41], -v[20:21]
	v_add_f64_e64 v[20:21], v[54:55], -v[48:49]
	v_fma_f64 v[40:41], v[2:3], v[40:41], -v[118:119]
	s_delay_alu instid0(VALU_DEP_3) | instskip(NEXT) | instid1(VALU_DEP_3)
	v_add_f64_e32 v[120:121], v[118:119], v[116:117]
	v_add_f64_e64 v[48:49], v[52:53], -v[20:21]
	s_delay_alu instid0(VALU_DEP_2) | instskip(NEXT) | instid1(VALU_DEP_1)
	v_add_f64_e32 v[122:123], v[120:121], v[50:51]
	v_add_f64_e64 v[52:53], v[122:123], -v[120:121]
	s_delay_alu instid0(VALU_DEP_3) | instskip(NEXT) | instid1(VALU_DEP_2)
	v_add_f64_e32 v[20:21], v[48:49], v[122:123]
	v_add_f64_e64 v[50:51], v[50:51], -v[52:53]
	v_add_f64_e64 v[52:53], v[122:123], -v[52:53]
	s_delay_alu instid0(VALU_DEP_3) | instskip(NEXT) | instid1(VALU_DEP_2)
	v_add_f64_e64 v[48:49], v[20:21], -v[48:49]
	v_add_f64_e64 v[52:53], v[120:121], -v[52:53]
	s_delay_alu instid0(VALU_DEP_2) | instskip(NEXT) | instid1(VALU_DEP_2)
	v_add_f64_e64 v[48:49], v[122:123], -v[48:49]
	v_add_f64_e32 v[50:51], v[50:51], v[52:53]
	v_add_f64_e64 v[52:53], v[120:121], -v[118:119]
	s_delay_alu instid0(VALU_DEP_1) | instskip(SKIP_1) | instid1(VALU_DEP_1)
	v_add_f64_e64 v[54:55], v[116:117], -v[52:53]
	v_add_f64_e64 v[52:53], v[120:121], -v[52:53]
	;; [unrolled: 1-line block ×3, first 2 shown]
	s_delay_alu instid0(VALU_DEP_1) | instskip(NEXT) | instid1(VALU_DEP_1)
	v_add_f64_e32 v[52:53], v[54:55], v[52:53]
	v_add_f64_e32 v[50:51], v[52:53], v[50:51]
	s_delay_alu instid0(VALU_DEP_1) | instskip(NEXT) | instid1(VALU_DEP_1)
	v_add_f64_e32 v[40:41], v[40:41], v[50:51]
	v_add_f64_e32 v[40:41], v[48:49], v[40:41]
	v_ldexp_f64 v[48:49], v[112:113], 2
	s_delay_alu instid0(VALU_DEP_1) | instskip(NEXT) | instid1(VALU_DEP_1)
	v_dual_cndmask_b32 v23, 0, v49 :: v_dual_cndmask_b32 v22, 0, v48
	v_add_f64_e32 v[48:49], v[20:21], v[22:23]
	s_delay_alu instid0(VALU_DEP_1) | instskip(SKIP_1) | instid1(VALU_DEP_1)
	v_cmp_gt_f64_e32 vcc_lo, 0, v[48:49]
	v_cndmask_b32_e64 v27, 0, 0x40100000, vcc_lo
	v_add_f64_e32 v[22:23], v[22:23], v[26:27]
	s_delay_alu instid0(VALU_DEP_1) | instskip(NEXT) | instid1(VALU_DEP_1)
	v_add_f64_e32 v[48:49], v[20:21], v[22:23]
	v_cvt_i32_f64_e32 v0, v[48:49]
	s_delay_alu instid0(VALU_DEP_1) | instskip(NEXT) | instid1(VALU_DEP_1)
	v_cvt_f64_i32_e32 v[48:49], v0
	v_add_f64_e64 v[22:23], v[22:23], -v[48:49]
	s_delay_alu instid0(VALU_DEP_1) | instskip(NEXT) | instid1(VALU_DEP_1)
	v_add_f64_e32 v[48:49], v[20:21], v[22:23]
	v_add_f64_e64 v[22:23], v[48:49], -v[22:23]
	v_cmp_le_f64_e32 vcc_lo, 0.5, v[48:49]
	s_delay_alu instid0(VALU_DEP_2) | instskip(SKIP_2) | instid1(VALU_DEP_2)
	v_add_f64_e64 v[20:21], v[20:21], -v[22:23]
	v_cndmask_b32_e64 v27, 0, 0x3ff00000, vcc_lo
	v_add_co_ci_u32_e64 v0, null, 0, v0, vcc_lo
	v_add_f64_e64 v[22:23], v[48:49], -v[26:27]
	s_delay_alu instid0(VALU_DEP_4) | instskip(NEXT) | instid1(VALU_DEP_1)
	v_add_f64_e32 v[20:21], v[40:41], v[20:21]
	v_add_f64_e32 v[40:41], v[22:23], v[20:21]
	s_delay_alu instid0(VALU_DEP_1) | instskip(NEXT) | instid1(VALU_DEP_1)
	v_add_f64_e64 v[22:23], v[40:41], -v[22:23]
	v_add_f64_e64 v[20:21], v[20:21], -v[22:23]
	v_mul_f64_e32 v[22:23], 0x3ff921fb54442d18, v[40:41]
	s_delay_alu instid0(VALU_DEP_1) | instskip(NEXT) | instid1(VALU_DEP_1)
	v_fma_f64 v[48:49], v[40:41], s[10:11], -v[22:23]
	v_fmac_f64_e32 v[48:49], 0x3c91a62633145c07, v[40:41]
	s_delay_alu instid0(VALU_DEP_1) | instskip(NEXT) | instid1(VALU_DEP_1)
	v_fmac_f64_e32 v[48:49], 0x3ff921fb54442d18, v[20:21]
	v_add_f64_e32 v[118:119], v[22:23], v[48:49]
	s_delay_alu instid0(VALU_DEP_1) | instskip(NEXT) | instid1(VALU_DEP_1)
	v_add_f64_e64 v[20:21], v[118:119], -v[22:23]
	v_add_f64_e64 v[120:121], v[48:49], -v[20:21]
.LBB0_116:                              ;   in Loop: Header=BB0_90 Depth=2
	s_or_saveexec_b32 s24, s24
	v_mul_f64_e64 v[20:21], |v[96:97]|, s[12:13]
	s_delay_alu instid0(VALU_DEP_1)
	v_rndne_f64_e32 v[40:41], v[20:21]
	s_xor_b32 exec_lo, exec_lo, s24
	s_cbranch_execz .LBB0_118
; %bb.117:                              ;   in Loop: Header=BB0_90 Depth=2
	s_delay_alu instid0(VALU_DEP_1) | instskip(SKIP_2) | instid1(VALU_DEP_2)
	v_fma_f64 v[20:21], v[40:41], s[14:15], |v[96:97]|
	v_mul_f64_e32 v[22:23], 0xbc91a62633145c00, v[40:41]
	v_cvt_i32_f64_e32 v0, v[40:41]
	v_add_f64_e32 v[48:49], v[20:21], v[22:23]
	s_delay_alu instid0(VALU_DEP_1) | instskip(SKIP_1) | instid1(VALU_DEP_1)
	v_add_f64_e64 v[50:51], v[20:21], -v[48:49]
	v_fmamk_f64 v[20:21], v[40:41], 0xbc91a62633145c00, v[20:21]
	v_add_f64_e64 v[48:49], v[48:49], -v[20:21]
	s_delay_alu instid0(VALU_DEP_3) | instskip(SKIP_1) | instid1(VALU_DEP_2)
	v_add_f64_e32 v[50:51], v[50:51], v[22:23]
	v_fmamk_f64 v[22:23], v[40:41], 0x3c91a62633145c00, v[22:23]
	v_add_f64_e32 v[48:49], v[48:49], v[50:51]
	s_delay_alu instid0(VALU_DEP_1) | instskip(NEXT) | instid1(VALU_DEP_1)
	v_add_f64_e64 v[22:23], v[48:49], -v[22:23]
	v_fmac_f64_e32 v[22:23], 0xb97b839a252049c0, v[40:41]
	s_delay_alu instid0(VALU_DEP_1) | instskip(NEXT) | instid1(VALU_DEP_1)
	v_add_f64_e32 v[118:119], v[20:21], v[22:23]
	v_add_f64_e64 v[20:21], v[118:119], -v[20:21]
	s_delay_alu instid0(VALU_DEP_1)
	v_add_f64_e64 v[120:121], v[22:23], -v[20:21]
.LBB0_118:                              ;   in Loop: Header=BB0_90 Depth=2
	s_or_b32 exec_lo, exec_lo, s24
                                        ; implicit-def: $vgpr48
                                        ; implicit-def: $vgpr20_vgpr21
                                        ; implicit-def: $vgpr22_vgpr23
	s_and_saveexec_b32 s24, s1
	s_delay_alu instid0(SALU_CYCLE_1)
	s_xor_b32 s1, exec_lo, s24
	s_cbranch_execz .LBB0_120
; %bb.119:                              ;   in Loop: Header=BB0_90 Depth=2
	v_cmp_le_f64_e64 vcc_lo, 0x7b000000, |v[96:97]|
	v_dual_cndmask_b32 v21, v46, v39 :: v_dual_cndmask_b32 v20, v96, v38
	s_delay_alu instid0(VALU_DEP_1) | instskip(SKIP_1) | instid1(VALU_DEP_2)
	v_mul_f64_e32 v[38:39], v[18:19], v[20:21]
	v_mul_f64_e32 v[22:23], v[16:17], v[20:21]
	v_fma_f64 v[40:41], v[18:19], v[20:21], -v[38:39]
	s_delay_alu instid0(VALU_DEP_1) | instskip(NEXT) | instid1(VALU_DEP_1)
	v_add_f64_e32 v[46:47], v[22:23], v[40:41]
	v_add_f64_e32 v[48:49], v[38:39], v[46:47]
	s_delay_alu instid0(VALU_DEP_1) | instskip(NEXT) | instid1(VALU_DEP_1)
	v_ldexp_f64 v[18:19], v[48:49], -2
	v_cmp_neq_f64_e64 vcc_lo, 0x7ff00000, |v[18:19]|
	v_add_f64_e64 v[52:53], v[46:47], -v[22:23]
	v_fract_f64_e32 v[50:51], v[18:19]
	s_delay_alu instid0(VALU_DEP_2) | instskip(SKIP_1) | instid1(VALU_DEP_1)
	v_add_f64_e64 v[40:41], v[40:41], -v[52:53]
	v_add_f64_e64 v[52:53], v[46:47], -v[52:53]
	;; [unrolled: 1-line block ×3, first 2 shown]
	v_fma_f64 v[22:23], v[16:17], v[20:21], -v[22:23]
	s_delay_alu instid0(VALU_DEP_2) | instskip(SKIP_1) | instid1(VALU_DEP_1)
	v_add_f64_e32 v[40:41], v[40:41], v[52:53]
	v_mul_f64_e32 v[52:53], v[2:3], v[20:21]
	v_fma_f64 v[2:3], v[2:3], v[20:21], -v[52:53]
	v_ldexp_f64 v[20:21], v[50:51], 2
	s_delay_alu instid0(VALU_DEP_1) | instskip(SKIP_1) | instid1(VALU_DEP_2)
	v_dual_add_f64 v[54:55], v[52:53], v[22:23] :: v_dual_cndmask_b32 v19, 0, v21, vcc_lo
	v_add_f64_e64 v[16:17], v[48:49], -v[38:39]
	v_add_f64_e32 v[112:113], v[54:55], v[40:41]
	s_delay_alu instid0(VALU_DEP_4) | instskip(NEXT) | instid1(VALU_DEP_3)
	v_cndmask_b32_e32 v18, 0, v20, vcc_lo
	v_add_f64_e64 v[38:39], v[46:47], -v[16:17]
	s_delay_alu instid0(VALU_DEP_3) | instskip(NEXT) | instid1(VALU_DEP_2)
	v_add_f64_e64 v[46:47], v[112:113], -v[54:55]
	v_add_f64_e32 v[16:17], v[38:39], v[112:113]
	s_delay_alu instid0(VALU_DEP_2) | instskip(SKIP_1) | instid1(VALU_DEP_3)
	v_add_f64_e64 v[40:41], v[40:41], -v[46:47]
	v_add_f64_e64 v[46:47], v[112:113], -v[46:47]
	v_add_f64_e32 v[20:21], v[16:17], v[18:19]
	v_add_f64_e64 v[38:39], v[16:17], -v[38:39]
	s_delay_alu instid0(VALU_DEP_3) | instskip(NEXT) | instid1(VALU_DEP_3)
	v_add_f64_e64 v[46:47], v[54:55], -v[46:47]
	v_cmp_gt_f64_e32 vcc_lo, 0, v[20:21]
	s_delay_alu instid0(VALU_DEP_3) | instskip(NEXT) | instid1(VALU_DEP_3)
	v_add_f64_e64 v[38:39], v[112:113], -v[38:39]
	v_add_f64_e32 v[40:41], v[40:41], v[46:47]
	v_add_f64_e64 v[46:47], v[54:55], -v[52:53]
	v_cndmask_b32_e64 v27, 0, 0x40100000, vcc_lo
	s_delay_alu instid0(VALU_DEP_2) | instskip(SKIP_1) | instid1(VALU_DEP_3)
	v_add_f64_e64 v[22:23], v[22:23], -v[46:47]
	v_add_f64_e64 v[46:47], v[54:55], -v[46:47]
	v_add_f64_e32 v[18:19], v[18:19], v[26:27]
	s_delay_alu instid0(VALU_DEP_2) | instskip(NEXT) | instid1(VALU_DEP_2)
	v_add_f64_e64 v[46:47], v[52:53], -v[46:47]
	v_add_f64_e32 v[20:21], v[16:17], v[18:19]
	s_delay_alu instid0(VALU_DEP_2) | instskip(NEXT) | instid1(VALU_DEP_2)
	v_add_f64_e32 v[22:23], v[22:23], v[46:47]
	v_cvt_i32_f64_e32 v4, v[20:21]
	s_delay_alu instid0(VALU_DEP_2) | instskip(NEXT) | instid1(VALU_DEP_2)
	v_add_f64_e32 v[22:23], v[22:23], v[40:41]
	v_cvt_f64_i32_e32 v[20:21], v4
                                        ; implicit-def: $vgpr40_vgpr41
	s_delay_alu instid0(VALU_DEP_2) | instskip(NEXT) | instid1(VALU_DEP_2)
	v_add_f64_e32 v[2:3], v[2:3], v[22:23]
	v_add_f64_e64 v[18:19], v[18:19], -v[20:21]
	s_delay_alu instid0(VALU_DEP_2) | instskip(NEXT) | instid1(VALU_DEP_2)
	v_add_f64_e32 v[2:3], v[38:39], v[2:3]
	v_add_f64_e32 v[20:21], v[16:17], v[18:19]
	s_delay_alu instid0(VALU_DEP_1) | instskip(SKIP_1) | instid1(VALU_DEP_2)
	v_add_f64_e64 v[18:19], v[20:21], -v[18:19]
	v_cmp_le_f64_e32 vcc_lo, 0.5, v[20:21]
	v_add_f64_e64 v[16:17], v[16:17], -v[18:19]
	v_cndmask_b32_e64 v27, 0, 0x3ff00000, vcc_lo
	v_add_co_ci_u32_e64 v48, null, 0, v4, vcc_lo
	s_delay_alu instid0(VALU_DEP_3) | instskip(NEXT) | instid1(VALU_DEP_3)
	v_add_f64_e32 v[2:3], v[2:3], v[16:17]
	v_add_f64_e64 v[16:17], v[20:21], -v[26:27]
	s_delay_alu instid0(VALU_DEP_1) | instskip(NEXT) | instid1(VALU_DEP_1)
	v_add_f64_e32 v[18:19], v[16:17], v[2:3]
	v_add_f64_e64 v[16:17], v[18:19], -v[16:17]
	s_delay_alu instid0(VALU_DEP_1) | instskip(SKIP_1) | instid1(VALU_DEP_1)
	v_add_f64_e64 v[2:3], v[2:3], -v[16:17]
	v_mul_f64_e32 v[16:17], 0x3ff921fb54442d18, v[18:19]
	v_fma_f64 v[22:23], v[18:19], s[10:11], -v[16:17]
	s_delay_alu instid0(VALU_DEP_1) | instskip(NEXT) | instid1(VALU_DEP_1)
	v_fmac_f64_e32 v[22:23], 0x3c91a62633145c07, v[18:19]
	v_fmac_f64_e32 v[22:23], 0x3ff921fb54442d18, v[2:3]
	s_delay_alu instid0(VALU_DEP_1) | instskip(NEXT) | instid1(VALU_DEP_1)
	v_add_f64_e32 v[20:21], v[16:17], v[22:23]
	v_add_f64_e64 v[2:3], v[20:21], -v[16:17]
	s_delay_alu instid0(VALU_DEP_1)
	v_add_f64_e64 v[22:23], v[22:23], -v[2:3]
	s_and_not1_saveexec_b32 s1, s1
	s_cbranch_execnz .LBB0_121
	s_branch .LBB0_122
.LBB0_120:                              ;   in Loop: Header=BB0_90 Depth=2
	s_and_not1_saveexec_b32 s1, s1
	s_cbranch_execz .LBB0_122
.LBB0_121:                              ;   in Loop: Header=BB0_90 Depth=2
	s_delay_alu instid0(VALU_DEP_1) | instskip(SKIP_2) | instid1(VALU_DEP_2)
	v_fma_f64 v[2:3], v[40:41], s[14:15], |v[96:97]|
	v_mul_f64_e32 v[16:17], 0xbc91a62633145c00, v[40:41]
	v_cvt_i32_f64_e32 v48, v[40:41]
	v_add_f64_e32 v[18:19], v[2:3], v[16:17]
	s_delay_alu instid0(VALU_DEP_1) | instskip(SKIP_1) | instid1(VALU_DEP_1)
	v_add_f64_e64 v[20:21], v[2:3], -v[18:19]
	v_fmamk_f64 v[2:3], v[40:41], 0xbc91a62633145c00, v[2:3]
	v_add_f64_e64 v[18:19], v[18:19], -v[2:3]
	s_delay_alu instid0(VALU_DEP_3) | instskip(SKIP_1) | instid1(VALU_DEP_2)
	v_add_f64_e32 v[20:21], v[20:21], v[16:17]
	v_fmamk_f64 v[16:17], v[40:41], 0x3c91a62633145c00, v[16:17]
	v_add_f64_e32 v[18:19], v[18:19], v[20:21]
	s_delay_alu instid0(VALU_DEP_1) | instskip(NEXT) | instid1(VALU_DEP_1)
	v_add_f64_e64 v[16:17], v[18:19], -v[16:17]
	v_fmac_f64_e32 v[16:17], 0xb97b839a252049c0, v[40:41]
	s_delay_alu instid0(VALU_DEP_1) | instskip(NEXT) | instid1(VALU_DEP_1)
	v_add_f64_e32 v[20:21], v[2:3], v[16:17]
	v_add_f64_e64 v[2:3], v[20:21], -v[2:3]
	s_delay_alu instid0(VALU_DEP_1)
	v_add_f64_e64 v[22:23], v[16:17], -v[2:3]
.LBB0_122:                              ;   in Loop: Header=BB0_90 Depth=2
	s_or_b32 exec_lo, exec_lo, s1
	scratch_load_b64 v[4:5], off, off       ; 8-byte Folded Reload
	v_mul_f64_e32 v[6:7], v[6:7], v[92:93]
	v_add_f64_e32 v[116:117], v[86:87], v[86:87]
	v_mov_b64_e32 v[10:11], 0xbe5ae600b42fdfa7
	v_fmamk_f64 v[16:17], v[72:73], 0x3fd3333333333333, v[28:29]
	v_fmamk_f64 v[2:3], v[70:71], 0xbfca12f684bda12f, v[36:37]
	;; [unrolled: 1-line block ×3, first 2 shown]
	s_delay_alu instid0(VALU_DEP_3) | instskip(NEXT) | instid1(VALU_DEP_3)
	v_fmac_f64_e32 v[16:17], 0xbfeccccccccccccd, v[94:95]
	v_fmac_f64_e32 v[2:3], 0x40040000, v[88:89]
	s_delay_alu instid0(VALU_DEP_3) | instskip(SKIP_1) | instid1(VALU_DEP_3)
	v_fmac_f64_e32 v[18:19], 0x40040000, v[90:91]
	v_div_scale_f64 v[38:39], null, v[6:7], v[6:7], 1.0
	v_fmac_f64_e32 v[2:3], 0xc004bda12f684bda, v[78:79]
	s_delay_alu instid0(VALU_DEP_3) | instskip(NEXT) | instid1(VALU_DEP_3)
	v_fmac_f64_e32 v[18:19], 0xc004bda12f684bda, v[76:77]
	v_rcp_f64_e32 v[40:41], v[38:39]
	v_nop
	s_delay_alu instid0(TRANS32_DEP_1) | instskip(NEXT) | instid1(VALU_DEP_1)
	v_fma_f64 v[46:47], -v[38:39], v[40:41], 1.0
	v_fmac_f64_e32 v[40:41], v[40:41], v[46:47]
	s_delay_alu instid0(VALU_DEP_1) | instskip(NEXT) | instid1(VALU_DEP_1)
	v_fma_f64 v[46:47], -v[38:39], v[40:41], 1.0
	v_fmac_f64_e32 v[40:41], v[40:41], v[46:47]
	v_div_scale_f64 v[46:47], vcc_lo, 1.0, v[6:7], 1.0
	s_delay_alu instid0(VALU_DEP_1) | instskip(NEXT) | instid1(VALU_DEP_1)
	v_mul_f64_e32 v[50:51], v[46:47], v[40:41]
	v_fma_f64 v[38:39], -v[38:39], v[50:51], v[46:47]
	s_delay_alu instid0(VALU_DEP_1)
	v_div_fmas_f64 v[38:39], v[38:39], v[40:41], v[50:51]
	v_add_f64_e32 v[40:41], v[24:25], v[24:25]
	s_wait_loadcnt 0x0
	v_fmamk_f64 v[112:113], v[42:43], 0x3f9e3425ed097b42, v[4:5]
	scratch_load_b64 v[4:5], off, off offset:8 ; 8-byte Folded Reload
	v_fmac_f64_e32 v[112:113], 0x3fd5e000, v[82:83]
	v_div_fixup_f64 v[122:123], v[38:39], v[6:7], 1.0
	v_add_f64_e32 v[6:7], v[8:9], v[98:99]
	v_mul_f64_e32 v[24:25], v[24:25], v[40:41]
	v_mul_f64_e32 v[40:41], 0.5, v[114:115]
	v_fmac_f64_e32 v[112:113], 0x3fa54bda12f684be, v[74:75]
	s_delay_alu instid0(VALU_DEP_4) | instskip(SKIP_1) | instid1(VALU_DEP_3)
	v_mul_f64_e32 v[124:125], v[116:117], v[6:7]
	v_add_f64_e32 v[6:7], -1.0, v[86:87]
	v_fmac_f64_e32 v[112:113], 0x3fd99f425ed097b4, v[80:81]
	s_wait_loadcnt 0x0
	s_delay_alu instid0(VALU_DEP_2) | instskip(SKIP_1) | instid1(VALU_DEP_2)
	v_dual_fma_f64 v[38:39], -v[4:5], v[6:7], v[124:125] :: v_dual_bitop2_b32 v4, 1, v1 bitop3:0x40
	v_lshlrev_b32_e32 v1, 30, v1
	v_cmp_eq_u32_e32 vcc_lo, 0, v4
	s_delay_alu instid0(VALU_DEP_2) | instskip(SKIP_3) | instid1(VALU_DEP_3)
	v_xor_b32_e32 v1, v1, v85
	v_mul_f64_e32 v[6:7], v[6:7], v[24:25]
	v_mul_f64_e32 v[24:25], v[110:111], v[110:111]
	v_add_f64_e64 v[38:39], v[38:39], -v[66:67]
	v_mul_f64_e32 v[6:7], v[6:7], v[100:101]
	s_delay_alu instid0(VALU_DEP_3) | instskip(SKIP_1) | instid1(VALU_DEP_2)
	v_fmamk_f64 v[50:51], v[24:25], 0xbda907db46cc5e42, v[64:65]
	v_mul_f64_e32 v[46:47], v[24:25], v[24:25]
	v_fmaak_f64 v[50:51], v[24:25], v[50:51], 0xbe927e4fa17f65f6
	s_delay_alu instid0(VALU_DEP_1) | instskip(NEXT) | instid1(VALU_DEP_1)
	v_fmaak_f64 v[50:51], v[24:25], v[50:51], 0x3efa01a019f4ec90
	v_fmaak_f64 v[50:51], v[24:25], v[50:51], 0xbf56c16c16c16967
	v_fma_f64 v[6:7], v[38:39], v[122:123], -v[6:7]
	v_fmamk_f64 v[38:39], v[24:25], 0x3de5e0b2f9a43bb8, v[10:11]
	s_delay_alu instid0(VALU_DEP_1) | instskip(NEXT) | instid1(VALU_DEP_1)
	v_fmaak_f64 v[38:39], v[24:25], v[38:39], 0x3ec71de3796cde01
	v_fmaak_f64 v[38:39], v[24:25], v[38:39], 0xbf2a01a019e83e5c
	s_delay_alu instid0(VALU_DEP_1) | instskip(SKIP_2) | instid1(VALU_DEP_2)
	v_fmaak_f64 v[38:39], v[24:25], v[38:39], 0x3f81111111110bb3
	v_mul_f64_e64 v[82:83], v[44:45], -v[6:7]
	v_mul_f64_e64 v[6:7], v[110:111], -v[24:25]
	v_fmac_f64_e32 v[16:17], 0x3ff3333333333333, v[82:83]
	s_delay_alu instid0(VALU_DEP_2) | instskip(NEXT) | instid1(VALU_DEP_1)
	v_fmac_f64_e32 v[40:41], v[6:7], v[38:39]
	v_fma_f64 v[38:39], v[24:25], v[40:41], -v[114:115]
	s_delay_alu instid0(VALU_DEP_1) | instskip(NEXT) | instid1(VALU_DEP_1)
	v_fmac_f64_e32 v[38:39], 0xbfc5555555555555, v[6:7]
	v_add_f64_e64 v[6:7], v[110:111], -v[38:39]
	v_mul_f64_e32 v[38:39], 0.5, v[24:25]
	v_fmaak_f64 v[24:25], v[24:25], v[50:51], 0x3fa5555555555555
	s_delay_alu instid0(VALU_DEP_2) | instskip(NEXT) | instid1(VALU_DEP_1)
	v_add_f64_e64 v[40:41], -v[38:39], 1.0
	v_add_f64_e64 v[50:51], -v[40:41], 1.0
	s_delay_alu instid0(VALU_DEP_1) | instskip(NEXT) | instid1(VALU_DEP_1)
	v_add_f64_e64 v[38:39], v[50:51], -v[38:39]
	v_fma_f64 v[38:39], v[110:111], -v[114:115], v[38:39]
	s_delay_alu instid0(VALU_DEP_1) | instskip(NEXT) | instid1(VALU_DEP_1)
	v_fmac_f64_e32 v[38:39], v[46:47], v[24:25]
	v_add_f64_e32 v[24:25], v[40:41], v[38:39]
	s_delay_alu instid0(VALU_DEP_1) | instskip(NEXT) | instid1(VALU_DEP_2)
	v_dual_fma_f64 v[38:39], -2.0, v[104:105], v[106:107] :: v_dual_cndmask_b32 v5, v25, v7, vcc_lo
	v_cndmask_b32_e32 v4, v24, v6, vcc_lo
	s_delay_alu instid0(VALU_DEP_2) | instskip(NEXT) | instid1(VALU_DEP_3)
	v_add_f64_e32 v[40:41], v[8:9], v[38:39]
	v_bitop3_b32 v1, v5, v1, 0x80000000 bitop3:0x78
	s_delay_alu instid0(VALU_DEP_3) | instskip(SKIP_1) | instid1(VALU_DEP_3)
	v_cndmask_b32_e64 v24, 0, v4, s0
	v_dual_lshlrev_b32 v5, 30, v48 :: v_dual_bitop2_b32 v4, 1, v48 bitop3:0x40
	v_cndmask_b32_e64 v25, 0x7ff80000, v1, s0
	v_cmp_class_f64_e64 s0, v[96:97], 0x1f8
                                        ; implicit-def: $vgpr96
	s_delay_alu instid0(VALU_DEP_2) | instskip(SKIP_2) | instid1(VALU_DEP_3)
	v_mul_f64_e32 v[6:7], v[24:25], v[24:25]
	v_cmp_gt_f64_e32 vcc_lo, s[16:17], v[24:25]
	v_mul_f64_e64 v[38:39], v[40:41], -v[16:17]
	v_cndmask_b32_e64 v7, v7, 0x3c9cd2b2, vcc_lo
	s_delay_alu instid0(VALU_DEP_4) | instskip(SKIP_2) | instid1(VALU_DEP_1)
	v_cndmask_b32_e64 v6, v6, 0x97d889bc, vcc_lo
	v_cndmask_b32_e64 v25, v25, 0x3e45798e, vcc_lo
	;; [unrolled: 1-line block ×3, first 2 shown]
	v_mul_f64_e64 v[14:15], -v[24:25], v[14:15]
	s_delay_alu instid0(VALU_DEP_4) | instskip(SKIP_1) | instid1(VALU_DEP_2)
	v_mul_f64_e32 v[24:25], v[6:7], v[6:7]
	v_mul_f64_e32 v[38:39], v[38:39], v[126:127]
	v_div_scale_f64 v[46:47], null, v[24:25], v[24:25], v[34:35]
	s_delay_alu instid0(VALU_DEP_2) | instskip(NEXT) | instid1(VALU_DEP_2)
	v_mul_f64_e32 v[86:87], v[44:45], v[38:39]
	v_rcp_f64_e32 v[50:51], v[46:47]
	s_delay_alu instid0(VALU_DEP_1) | instskip(NEXT) | instid1(TRANS32_DEP_1)
	v_fmac_f64_e32 v[2:3], 0x3ff4bda12f684bda, v[86:87]
	v_fma_f64 v[52:53], -v[46:47], v[50:51], 1.0
	s_delay_alu instid0(VALU_DEP_1) | instskip(NEXT) | instid1(VALU_DEP_1)
	v_fmac_f64_e32 v[50:51], v[50:51], v[52:53]
	v_fma_f64 v[52:53], -v[46:47], v[50:51], 1.0
	s_delay_alu instid0(VALU_DEP_1) | instskip(SKIP_1) | instid1(VALU_DEP_1)
	v_fmac_f64_e32 v[50:51], v[50:51], v[52:53]
	v_div_scale_f64 v[52:53], vcc_lo, v[34:35], v[24:25], v[34:35]
	v_mul_f64_e32 v[54:55], v[52:53], v[50:51]
	s_delay_alu instid0(VALU_DEP_1) | instskip(NEXT) | instid1(VALU_DEP_1)
	v_fma_f64 v[46:47], -v[46:47], v[54:55], v[52:53]
	v_div_fmas_f64 v[46:47], v[46:47], v[50:51], v[54:55]
	v_cmp_eq_u32_e32 vcc_lo, 0, v4
	s_delay_alu instid0(VALU_DEP_2) | instskip(NEXT) | instid1(VALU_DEP_1)
	v_div_fixup_f64 v[24:25], v[46:47], v[24:25], v[34:35]
	v_add_f64_e64 v[24:25], v[24:25], -v[8:9]
	s_delay_alu instid0(VALU_DEP_1) | instskip(SKIP_1) | instid1(VALU_DEP_2)
	v_mul_f64_e32 v[14:15], v[24:25], v[14:15]
	v_mul_f64_e32 v[24:25], v[20:21], v[20:21]
	;; [unrolled: 1-line block ×3, first 2 shown]
	s_delay_alu instid0(VALU_DEP_2) | instskip(NEXT) | instid1(VALU_DEP_1)
	v_fmamk_f64 v[50:51], v[24:25], 0xbda907db46cc5e42, v[64:65]
	v_fmaak_f64 v[50:51], v[24:25], v[50:51], 0xbe927e4fa17f65f6
	s_delay_alu instid0(VALU_DEP_1) | instskip(NEXT) | instid1(VALU_DEP_1)
	v_fmaak_f64 v[50:51], v[24:25], v[50:51], 0x3efa01a019f4ec90
	v_fmaak_f64 v[50:51], v[24:25], v[50:51], 0xbf56c16c16c16967
	s_delay_alu instid0(VALU_DEP_1) | instskip(SKIP_2) | instid1(VALU_DEP_2)
	v_fmaak_f64 v[50:51], v[24:25], v[50:51], 0x3fa5555555555555
	v_mul_f64_e32 v[84:85], v[44:45], v[14:15]
	v_mul_f64_e32 v[14:15], 0.5, v[24:25]
	v_fmac_f64_e32 v[18:19], 0x3ff4bda12f684bda, v[84:85]
	s_delay_alu instid0(VALU_DEP_2) | instskip(NEXT) | instid1(VALU_DEP_1)
	v_add_f64_e64 v[38:39], -v[14:15], 1.0
	v_add_f64_e64 v[46:47], -v[38:39], 1.0
	s_delay_alu instid0(VALU_DEP_1) | instskip(SKIP_1) | instid1(VALU_DEP_2)
	v_add_f64_e64 v[14:15], v[46:47], -v[14:15]
	v_mul_f64_e32 v[46:47], v[24:25], v[24:25]
	v_fma_f64 v[14:15], v[20:21], -v[22:23], v[14:15]
	s_delay_alu instid0(VALU_DEP_1) | instskip(SKIP_1) | instid1(VALU_DEP_2)
	v_fmac_f64_e32 v[14:15], v[46:47], v[50:51]
	v_mul_f64_e32 v[50:51], 0.5, v[22:23]
	v_add_f64_e32 v[14:15], v[38:39], v[14:15]
	v_fmamk_f64 v[38:39], v[24:25], 0x3de5e0b2f9a43bb8, v[10:11]
	s_delay_alu instid0(VALU_DEP_1) | instskip(NEXT) | instid1(VALU_DEP_1)
	v_fmaak_f64 v[38:39], v[24:25], v[38:39], 0x3ec71de3796cde01
	v_fmaak_f64 v[38:39], v[24:25], v[38:39], 0xbf2a01a019e83e5c
	s_delay_alu instid0(VALU_DEP_1) | instskip(SKIP_1) | instid1(VALU_DEP_1)
	v_fmaak_f64 v[46:47], v[24:25], v[38:39], 0x3f81111111110bb3
	v_mul_f64_e64 v[38:39], v[20:21], -v[24:25]
	v_fmac_f64_e32 v[50:51], v[38:39], v[46:47]
	v_mul_f64_e32 v[46:47], v[2:3], v[2:3]
	s_delay_alu instid0(VALU_DEP_2) | instskip(NEXT) | instid1(VALU_DEP_1)
	v_fma_f64 v[22:23], v[24:25], v[50:51], -v[22:23]
	v_fmac_f64_e32 v[22:23], 0xbfc5555555555555, v[38:39]
	s_delay_alu instid0(VALU_DEP_1) | instskip(NEXT) | instid1(VALU_DEP_1)
	v_add_f64_e64 v[20:21], v[20:21], -v[22:23]
	v_xor_b32_e32 v1, 0x80000000, v21
	s_delay_alu instid0(VALU_DEP_1) | instskip(NEXT) | instid1(VALU_DEP_1)
	v_dual_cndmask_b32 v4, v20, v14 :: v_dual_cndmask_b32 v1, v1, v15
	v_cndmask_b32_e64 v20, 0, v4, s0
	s_delay_alu instid0(VALU_DEP_2) | instskip(NEXT) | instid1(VALU_DEP_1)
	v_bitop3_b32 v1, v1, v5, 0x80000000 bitop3:0x78
	v_cndmask_b32_e64 v21, 0x7ff80000, v1, s0
	s_delay_alu instid0(VALU_DEP_1) | instskip(NEXT) | instid1(VALU_DEP_1)
	v_mul_f64_e32 v[14:15], v[20:21], v[20:21]
	v_fma_f64 v[50:51], v[8:9], v[14:15], v[46:47]
	s_delay_alu instid0(VALU_DEP_1) | instskip(NEXT) | instid1(VALU_DEP_1)
	v_div_scale_f64 v[14:15], null, v[50:51], v[50:51], 1.0
	v_rcp_f64_e32 v[22:23], v[14:15]
	v_nop
	s_delay_alu instid0(TRANS32_DEP_1) | instskip(NEXT) | instid1(VALU_DEP_1)
	v_fma_f64 v[24:25], -v[14:15], v[22:23], 1.0
	v_fmac_f64_e32 v[22:23], v[22:23], v[24:25]
	s_delay_alu instid0(VALU_DEP_1) | instskip(NEXT) | instid1(VALU_DEP_1)
	v_fma_f64 v[24:25], -v[14:15], v[22:23], 1.0
	v_fmac_f64_e32 v[22:23], v[22:23], v[24:25]
	v_div_scale_f64 v[24:25], vcc_lo, 1.0, v[50:51], 1.0
	s_delay_alu instid0(VALU_DEP_1) | instskip(NEXT) | instid1(VALU_DEP_1)
	v_mul_f64_e32 v[38:39], v[24:25], v[22:23]
	v_fma_f64 v[14:15], -v[14:15], v[38:39], v[24:25]
	s_delay_alu instid0(VALU_DEP_1) | instskip(NEXT) | instid1(VALU_DEP_1)
	v_div_fmas_f64 v[14:15], v[14:15], v[22:23], v[38:39]
                                        ; implicit-def: $vgpr22_vgpr23
	v_div_fixup_f64 v[52:53], v[14:15], v[50:51], 1.0
	s_delay_alu instid0(VALU_DEP_1) | instskip(NEXT) | instid1(VALU_DEP_1)
	v_mul_f64_e64 v[14:15], v[52:53], -v[18:19]
	v_mul_f64_e32 v[54:55], v[44:45], v[14:15]
                                        ; implicit-def: $vgpr14_vgpr15
	s_delay_alu instid0(VALU_DEP_1) | instskip(NEXT) | instid1(VALU_DEP_1)
	v_fmac_f64_e32 v[112:113], 0x3fafa000, v[54:55]
	v_cmp_ngt_f64_e64 s1, 0x41d00000, |v[112:113]|
	v_trig_preop_f64 v[98:99], |v[112:113]|, 0
	v_trig_preop_f64 v[38:39], |v[112:113]|, 1
	v_ldexp_f64 v[100:101], |v[112:113]|, 0xffffff80
	v_trig_preop_f64 v[24:25], |v[112:113]|, 2
	v_and_b32_e32 v114, 0x7fffffff, v113
	s_wait_xcnt 0x0
	s_and_saveexec_b32 s24, s1
	s_delay_alu instid0(SALU_CYCLE_1)
	s_xor_b32 s24, exec_lo, s24
	s_cbranch_execz .LBB0_124
; %bb.123:                              ;   in Loop: Header=BB0_90 Depth=2
	v_cmp_le_f64_e64 vcc_lo, 0x7b000000, |v[112:113]|
	s_delay_alu instid0(VALU_DEP_4) | instskip(NEXT) | instid1(VALU_DEP_1)
	v_dual_cndmask_b32 v5, v114, v101 :: v_dual_cndmask_b32 v4, v112, v100
	v_mul_f64_e32 v[22:23], v[98:99], v[4:5]
	v_mul_f64_e32 v[14:15], v[38:39], v[4:5]
	;; [unrolled: 1-line block ×3, first 2 shown]
	s_delay_alu instid0(VALU_DEP_3) | instskip(NEXT) | instid1(VALU_DEP_1)
	v_fma_f64 v[48:49], v[98:99], v[4:5], -v[22:23]
	v_add_f64_e32 v[110:111], v[14:15], v[48:49]
	s_delay_alu instid0(VALU_DEP_1) | instskip(NEXT) | instid1(VALU_DEP_1)
	v_add_f64_e32 v[10:11], v[22:23], v[110:111]
	v_ldexp_f64 v[18:19], v[10:11], -2
	v_add_f64_e64 v[10:11], v[10:11], -v[22:23]
	s_delay_alu instid0(VALU_DEP_2) | instskip(SKIP_1) | instid1(VALU_DEP_3)
	v_cmp_neq_f64_e64 vcc_lo, 0x7ff00000, |v[18:19]|
	v_add_f64_e64 v[56:57], v[110:111], -v[14:15]
	v_add_f64_e64 v[10:11], v[110:111], -v[10:11]
	v_fract_f64_e32 v[12:13], v[18:19]
	s_delay_alu instid0(VALU_DEP_3) | instskip(SKIP_1) | instid1(VALU_DEP_1)
	v_add_f64_e64 v[48:49], v[48:49], -v[56:57]
	v_add_f64_e64 v[56:57], v[110:111], -v[56:57]
	;; [unrolled: 1-line block ×3, first 2 shown]
	s_delay_alu instid0(VALU_DEP_1) | instskip(SKIP_2) | instid1(VALU_DEP_2)
	v_add_f64_e32 v[48:49], v[48:49], v[56:57]
	v_fma_f64 v[56:57], v[38:39], v[4:5], -v[14:15]
	v_fma_f64 v[4:5], v[24:25], v[4:5], -v[58:59]
	v_add_f64_e32 v[60:61], v[58:59], v[56:57]
	s_delay_alu instid0(VALU_DEP_1) | instskip(NEXT) | instid1(VALU_DEP_1)
	v_add_f64_e32 v[62:63], v[60:61], v[48:49]
	v_add_f64_e64 v[22:23], v[62:63], -v[60:61]
	v_add_f64_e32 v[14:15], v[10:11], v[62:63]
	s_delay_alu instid0(VALU_DEP_2) | instskip(SKIP_1) | instid1(VALU_DEP_3)
	v_add_f64_e64 v[48:49], v[48:49], -v[22:23]
	v_add_f64_e64 v[22:23], v[62:63], -v[22:23]
	;; [unrolled: 1-line block ×3, first 2 shown]
	s_delay_alu instid0(VALU_DEP_2) | instskip(NEXT) | instid1(VALU_DEP_2)
	v_add_f64_e64 v[22:23], v[60:61], -v[22:23]
	v_add_f64_e64 v[10:11], v[62:63], -v[10:11]
	s_delay_alu instid0(VALU_DEP_2) | instskip(SKIP_1) | instid1(VALU_DEP_1)
	v_add_f64_e32 v[22:23], v[48:49], v[22:23]
	v_add_f64_e64 v[48:49], v[60:61], -v[58:59]
	v_add_f64_e64 v[56:57], v[56:57], -v[48:49]
	;; [unrolled: 1-line block ×3, first 2 shown]
	s_delay_alu instid0(VALU_DEP_1) | instskip(NEXT) | instid1(VALU_DEP_1)
	v_add_f64_e64 v[48:49], v[58:59], -v[48:49]
	v_add_f64_e32 v[48:49], v[56:57], v[48:49]
	s_delay_alu instid0(VALU_DEP_1) | instskip(NEXT) | instid1(VALU_DEP_1)
	v_add_f64_e32 v[22:23], v[48:49], v[22:23]
	v_add_f64_e32 v[4:5], v[4:5], v[22:23]
	s_delay_alu instid0(VALU_DEP_1) | instskip(SKIP_1) | instid1(VALU_DEP_1)
	v_add_f64_e32 v[22:23], v[10:11], v[4:5]
	v_ldexp_f64 v[4:5], v[12:13], 2
	v_dual_cndmask_b32 v5, 0, v5 :: v_dual_cndmask_b32 v4, 0, v4
	s_delay_alu instid0(VALU_DEP_1) | instskip(NEXT) | instid1(VALU_DEP_1)
	v_add_f64_e32 v[10:11], v[14:15], v[4:5]
	v_cmp_gt_f64_e32 vcc_lo, 0, v[10:11]
	v_cndmask_b32_e64 v27, 0, 0x40100000, vcc_lo
	s_delay_alu instid0(VALU_DEP_1) | instskip(NEXT) | instid1(VALU_DEP_1)
	v_add_f64_e32 v[4:5], v[4:5], v[26:27]
	v_add_f64_e32 v[10:11], v[14:15], v[4:5]
	s_delay_alu instid0(VALU_DEP_1) | instskip(NEXT) | instid1(VALU_DEP_1)
	v_cvt_i32_f64_e32 v1, v[10:11]
	v_cvt_f64_i32_e32 v[10:11], v1
	s_delay_alu instid0(VALU_DEP_1) | instskip(NEXT) | instid1(VALU_DEP_1)
	v_add_f64_e64 v[4:5], v[4:5], -v[10:11]
	v_add_f64_e32 v[10:11], v[14:15], v[4:5]
	s_delay_alu instid0(VALU_DEP_1) | instskip(SKIP_1) | instid1(VALU_DEP_2)
	v_add_f64_e64 v[4:5], v[10:11], -v[4:5]
	v_cmp_le_f64_e32 vcc_lo, 0.5, v[10:11]
	v_add_f64_e64 v[4:5], v[14:15], -v[4:5]
	v_cndmask_b32_e64 v27, 0, 0x3ff00000, vcc_lo
	v_add_co_ci_u32_e64 v96, null, 0, v1, vcc_lo
	s_delay_alu instid0(VALU_DEP_2) | instskip(NEXT) | instid1(VALU_DEP_4)
	v_add_f64_e64 v[10:11], v[10:11], -v[26:27]
	v_add_f64_e32 v[4:5], v[22:23], v[4:5]
	s_delay_alu instid0(VALU_DEP_1) | instskip(NEXT) | instid1(VALU_DEP_1)
	v_add_f64_e32 v[12:13], v[10:11], v[4:5]
	v_add_f64_e64 v[10:11], v[12:13], -v[10:11]
	s_delay_alu instid0(VALU_DEP_1) | instskip(SKIP_1) | instid1(VALU_DEP_1)
	v_add_f64_e64 v[4:5], v[4:5], -v[10:11]
	v_mul_f64_e32 v[10:11], 0x3ff921fb54442d18, v[12:13]
	v_fma_f64 v[18:19], v[12:13], s[10:11], -v[10:11]
	s_delay_alu instid0(VALU_DEP_1) | instskip(NEXT) | instid1(VALU_DEP_1)
	v_fmac_f64_e32 v[18:19], 0x3c91a62633145c07, v[12:13]
	v_fmac_f64_e32 v[18:19], 0x3ff921fb54442d18, v[4:5]
	s_delay_alu instid0(VALU_DEP_1) | instskip(NEXT) | instid1(VALU_DEP_1)
	v_add_f64_e32 v[14:15], v[10:11], v[18:19]
	v_add_f64_e64 v[4:5], v[14:15], -v[10:11]
	s_delay_alu instid0(VALU_DEP_1)
	v_add_f64_e64 v[22:23], v[18:19], -v[4:5]
.LBB0_124:                              ;   in Loop: Header=BB0_90 Depth=2
	s_or_saveexec_b32 s24, s24
	v_mul_f64_e64 v[18:19], |v[112:113]|, s[12:13]
	s_delay_alu instid0(VALU_DEP_1)
	v_rndne_f64_e32 v[110:111], v[18:19]
	s_xor_b32 exec_lo, exec_lo, s24
	s_cbranch_execz .LBB0_126
; %bb.125:                              ;   in Loop: Header=BB0_90 Depth=2
	s_delay_alu instid0(VALU_DEP_1) | instskip(SKIP_2) | instid1(VALU_DEP_3)
	v_fma_f64 v[14:15], v[110:111], s[14:15], |v[112:113]|
	v_mul_f64_e32 v[18:19], 0xbc91a62633145c00, v[110:111]
	v_cvt_i32_f64_e32 v96, v[110:111]
	v_fmamk_f64 v[4:5], v[110:111], 0xbc91a62633145c00, v[14:15]
	s_delay_alu instid0(VALU_DEP_3) | instskip(NEXT) | instid1(VALU_DEP_1)
	v_add_f64_e32 v[22:23], v[14:15], v[18:19]
	v_add_f64_e64 v[48:49], v[14:15], -v[22:23]
	s_delay_alu instid0(VALU_DEP_3) | instskip(NEXT) | instid1(VALU_DEP_2)
	v_add_f64_e64 v[14:15], v[22:23], -v[4:5]
	v_add_f64_e32 v[22:23], v[48:49], v[18:19]
	v_fmamk_f64 v[18:19], v[110:111], 0x3c91a62633145c00, v[18:19]
	s_delay_alu instid0(VALU_DEP_2) | instskip(NEXT) | instid1(VALU_DEP_1)
	v_add_f64_e32 v[14:15], v[14:15], v[22:23]
	v_add_f64_e64 v[18:19], v[14:15], -v[18:19]
	s_delay_alu instid0(VALU_DEP_1) | instskip(NEXT) | instid1(VALU_DEP_1)
	v_fmac_f64_e32 v[18:19], 0xb97b839a252049c0, v[110:111]
	v_add_f64_e32 v[14:15], v[4:5], v[18:19]
	s_delay_alu instid0(VALU_DEP_1) | instskip(NEXT) | instid1(VALU_DEP_1)
	v_add_f64_e64 v[4:5], v[14:15], -v[4:5]
	v_add_f64_e64 v[22:23], v[18:19], -v[4:5]
.LBB0_126:                              ;   in Loop: Header=BB0_90 Depth=2
	s_or_b32 exec_lo, exec_lo, s24
                                        ; implicit-def: $vgpr1
                                        ; implicit-def: $vgpr18_vgpr19
                                        ; implicit-def: $vgpr48_vgpr49
	s_and_saveexec_b32 s24, s1
	s_delay_alu instid0(SALU_CYCLE_1)
	s_xor_b32 s1, exec_lo, s24
	s_cbranch_execz .LBB0_128
; %bb.127:                              ;   in Loop: Header=BB0_90 Depth=2
	v_cmp_le_f64_e64 vcc_lo, 0x7b000000, |v[112:113]|
                                        ; implicit-def: $vgpr110_vgpr111
	v_dual_cndmask_b32 v5, v114, v101 :: v_dual_cndmask_b32 v4, v112, v100
	s_delay_alu instid0(VALU_DEP_1) | instskip(SKIP_1) | instid1(VALU_DEP_2)
	v_mul_f64_e32 v[12:13], v[98:99], v[4:5]
	v_mul_f64_e32 v[10:11], v[38:39], v[4:5]
	v_fma_f64 v[18:19], v[98:99], v[4:5], -v[12:13]
	s_delay_alu instid0(VALU_DEP_1) | instskip(NEXT) | instid1(VALU_DEP_1)
	v_add_f64_e32 v[56:57], v[10:11], v[18:19]
	v_add_f64_e32 v[58:59], v[12:13], v[56:57]
	s_delay_alu instid0(VALU_DEP_1) | instskip(SKIP_1) | instid1(VALU_DEP_2)
	v_ldexp_f64 v[48:49], v[58:59], -2
	v_add_f64_e64 v[12:13], v[58:59], -v[12:13]
	v_cmp_neq_f64_e64 vcc_lo, 0x7ff00000, |v[48:49]|
	v_add_f64_e64 v[62:63], v[56:57], -v[10:11]
	s_delay_alu instid0(VALU_DEP_3) | instskip(SKIP_1) | instid1(VALU_DEP_3)
	v_add_f64_e64 v[12:13], v[56:57], -v[12:13]
	v_fract_f64_e32 v[60:61], v[48:49]
	v_add_f64_e64 v[18:19], v[18:19], -v[62:63]
	v_add_f64_e64 v[62:63], v[56:57], -v[62:63]
	s_delay_alu instid0(VALU_DEP_1) | instskip(SKIP_2) | instid1(VALU_DEP_3)
	v_add_f64_e64 v[62:63], v[10:11], -v[62:63]
	v_fma_f64 v[10:11], v[38:39], v[4:5], -v[10:11]
	v_mul_f64_e32 v[38:39], v[24:25], v[4:5]
	v_add_f64_e32 v[62:63], v[18:19], v[62:63]
	s_delay_alu instid0(VALU_DEP_2) | instskip(SKIP_1) | instid1(VALU_DEP_2)
	v_add_f64_e32 v[98:99], v[38:39], v[10:11]
	v_fma_f64 v[4:5], v[24:25], v[4:5], -v[38:39]
	v_add_f64_e32 v[100:101], v[98:99], v[62:63]
	s_delay_alu instid0(VALU_DEP_1) | instskip(SKIP_1) | instid1(VALU_DEP_2)
	v_add_f64_e64 v[56:57], v[100:101], -v[98:99]
	v_add_f64_e32 v[18:19], v[12:13], v[100:101]
	v_add_f64_e64 v[58:59], v[62:63], -v[56:57]
	v_add_f64_e64 v[56:57], v[100:101], -v[56:57]
	s_delay_alu instid0(VALU_DEP_3) | instskip(NEXT) | instid1(VALU_DEP_2)
	v_add_f64_e64 v[12:13], v[18:19], -v[12:13]
	v_add_f64_e64 v[56:57], v[98:99], -v[56:57]
	s_delay_alu instid0(VALU_DEP_2) | instskip(NEXT) | instid1(VALU_DEP_2)
	v_add_f64_e64 v[12:13], v[100:101], -v[12:13]
	v_add_f64_e32 v[56:57], v[58:59], v[56:57]
	v_add_f64_e64 v[58:59], v[98:99], -v[38:39]
	s_delay_alu instid0(VALU_DEP_1) | instskip(SKIP_1) | instid1(VALU_DEP_1)
	v_add_f64_e64 v[10:11], v[10:11], -v[58:59]
	v_add_f64_e64 v[58:59], v[98:99], -v[58:59]
	;; [unrolled: 1-line block ×3, first 2 shown]
	s_delay_alu instid0(VALU_DEP_1) | instskip(NEXT) | instid1(VALU_DEP_1)
	v_add_f64_e32 v[10:11], v[10:11], v[58:59]
	v_add_f64_e32 v[10:11], v[10:11], v[56:57]
	s_delay_alu instid0(VALU_DEP_1) | instskip(NEXT) | instid1(VALU_DEP_1)
	v_add_f64_e32 v[4:5], v[4:5], v[10:11]
	v_add_f64_e32 v[24:25], v[12:13], v[4:5]
	v_ldexp_f64 v[4:5], v[60:61], 2
	s_delay_alu instid0(VALU_DEP_1) | instskip(NEXT) | instid1(VALU_DEP_1)
	v_dual_cndmask_b32 v5, 0, v5 :: v_dual_cndmask_b32 v4, 0, v4
	v_add_f64_e32 v[10:11], v[18:19], v[4:5]
	s_delay_alu instid0(VALU_DEP_1) | instskip(SKIP_1) | instid1(VALU_DEP_1)
	v_cmp_gt_f64_e32 vcc_lo, 0, v[10:11]
	v_cndmask_b32_e64 v27, 0, 0x40100000, vcc_lo
	v_add_f64_e32 v[4:5], v[4:5], v[26:27]
	s_delay_alu instid0(VALU_DEP_1) | instskip(NEXT) | instid1(VALU_DEP_1)
	v_add_f64_e32 v[10:11], v[18:19], v[4:5]
	v_cvt_i32_f64_e32 v1, v[10:11]
	s_delay_alu instid0(VALU_DEP_1) | instskip(NEXT) | instid1(VALU_DEP_1)
	v_cvt_f64_i32_e32 v[10:11], v1
	v_add_f64_e64 v[4:5], v[4:5], -v[10:11]
	s_delay_alu instid0(VALU_DEP_1) | instskip(NEXT) | instid1(VALU_DEP_1)
	v_add_f64_e32 v[10:11], v[18:19], v[4:5]
	v_add_f64_e64 v[4:5], v[10:11], -v[4:5]
	v_cmp_le_f64_e32 vcc_lo, 0.5, v[10:11]
	s_delay_alu instid0(VALU_DEP_2) | instskip(SKIP_2) | instid1(VALU_DEP_2)
	v_add_f64_e64 v[4:5], v[18:19], -v[4:5]
	v_cndmask_b32_e64 v27, 0, 0x3ff00000, vcc_lo
	v_add_co_ci_u32_e64 v1, null, 0, v1, vcc_lo
	v_add_f64_e64 v[10:11], v[10:11], -v[26:27]
	s_delay_alu instid0(VALU_DEP_4) | instskip(NEXT) | instid1(VALU_DEP_1)
	v_add_f64_e32 v[4:5], v[24:25], v[4:5]
	v_add_f64_e32 v[12:13], v[10:11], v[4:5]
	s_delay_alu instid0(VALU_DEP_1) | instskip(NEXT) | instid1(VALU_DEP_1)
	v_add_f64_e64 v[10:11], v[12:13], -v[10:11]
	v_add_f64_e64 v[4:5], v[4:5], -v[10:11]
	v_mul_f64_e32 v[10:11], 0x3ff921fb54442d18, v[12:13]
	s_delay_alu instid0(VALU_DEP_1) | instskip(NEXT) | instid1(VALU_DEP_1)
	v_fma_f64 v[24:25], v[12:13], s[10:11], -v[10:11]
	v_fmac_f64_e32 v[24:25], 0x3c91a62633145c07, v[12:13]
	s_delay_alu instid0(VALU_DEP_1) | instskip(NEXT) | instid1(VALU_DEP_1)
	v_fmac_f64_e32 v[24:25], 0x3ff921fb54442d18, v[4:5]
	v_add_f64_e32 v[18:19], v[10:11], v[24:25]
	s_delay_alu instid0(VALU_DEP_1) | instskip(NEXT) | instid1(VALU_DEP_1)
	v_add_f64_e64 v[4:5], v[18:19], -v[10:11]
	v_add_f64_e64 v[48:49], v[24:25], -v[4:5]
	s_or_saveexec_b32 s1, s1
	v_mov_b64_e32 v[98:99], v[66:67]
	s_xor_b32 exec_lo, exec_lo, s1
	s_cbranch_execnz .LBB0_129
	s_branch .LBB0_130
.LBB0_128:                              ;   in Loop: Header=BB0_90 Depth=2
	s_or_saveexec_b32 s1, s1
	v_mov_b64_e32 v[98:99], v[66:67]
	s_xor_b32 exec_lo, exec_lo, s1
	s_cbranch_execz .LBB0_130
.LBB0_129:                              ;   in Loop: Header=BB0_90 Depth=2
	s_delay_alu instid0(VALU_DEP_2) | instskip(SKIP_2) | instid1(VALU_DEP_2)
	v_fma_f64 v[4:5], v[110:111], s[14:15], |v[112:113]|
	v_mul_f64_e32 v[10:11], 0xbc91a62633145c00, v[110:111]
	v_cvt_i32_f64_e32 v1, v[110:111]
	v_add_f64_e32 v[12:13], v[4:5], v[10:11]
	s_delay_alu instid0(VALU_DEP_1) | instskip(SKIP_1) | instid1(VALU_DEP_1)
	v_add_f64_e64 v[18:19], v[4:5], -v[12:13]
	v_fmamk_f64 v[4:5], v[110:111], 0xbc91a62633145c00, v[4:5]
	v_add_f64_e64 v[12:13], v[12:13], -v[4:5]
	s_delay_alu instid0(VALU_DEP_3) | instskip(SKIP_1) | instid1(VALU_DEP_2)
	v_add_f64_e32 v[18:19], v[18:19], v[10:11]
	v_fmamk_f64 v[10:11], v[110:111], 0x3c91a62633145c00, v[10:11]
	v_add_f64_e32 v[12:13], v[12:13], v[18:19]
	s_delay_alu instid0(VALU_DEP_1) | instskip(NEXT) | instid1(VALU_DEP_1)
	v_add_f64_e64 v[10:11], v[12:13], -v[10:11]
	v_fmac_f64_e32 v[10:11], 0xb97b839a252049c0, v[110:111]
	s_delay_alu instid0(VALU_DEP_1) | instskip(NEXT) | instid1(VALU_DEP_1)
	v_add_f64_e32 v[18:19], v[4:5], v[10:11]
	v_add_f64_e64 v[4:5], v[18:19], -v[4:5]
	s_delay_alu instid0(VALU_DEP_1)
	v_add_f64_e64 v[48:49], v[10:11], -v[4:5]
.LBB0_130:                              ;   in Loop: Header=BB0_90 Depth=2
	s_or_b32 exec_lo, exec_lo, s1
	s_clause 0x1
	scratch_load_b64 v[24:25], off, off offset:40
	scratch_load_b64 v[30:31], off, off offset:8
	v_add_f64_e64 v[92:93], v[92:93], -v[116:117]
	v_mul_f64_e32 v[10:11], 0x3f71965965965970, v[70:71]
	v_mul_f64_e32 v[12:13], 0x3f71965965965970, v[42:43]
	v_add_f64_e32 v[4:5], v[104:105], v[104:105]
	v_mul_f64_e32 v[60:61], 0x3f71965965965970, v[72:73]
	v_mul_f64_e32 v[62:63], 0x3f71965965965970, v[68:69]
	v_fmamk_f64 v[38:39], v[72:73], 0xbfca12f684bda12f, v[28:29]
	s_mov_b32 s1, -1
	s_delay_alu instid0(VALU_DEP_1) | instskip(SKIP_1) | instid1(VALU_DEP_2)
	v_fmac_f64_e32 v[38:39], 0x40040000, v[94:95]
	v_mul_f64_e32 v[92:93], v[32:33], v[92:93]
	v_fmac_f64_e32 v[38:39], 0xc004bda12f684bda, v[82:83]
	s_delay_alu instid0(VALU_DEP_2) | instskip(NEXT) | instid1(VALU_DEP_1)
	v_div_scale_f64 v[110:111], null, v[102:103], v[102:103], v[92:93]
	v_rcp_f64_e32 v[114:115], v[110:111]
	v_nop
	s_delay_alu instid0(TRANS32_DEP_1) | instskip(NEXT) | instid1(VALU_DEP_1)
	v_fma_f64 v[64:65], -v[110:111], v[114:115], 1.0
	v_fmac_f64_e32 v[114:115], v[114:115], v[64:65]
	s_delay_alu instid0(VALU_DEP_1) | instskip(NEXT) | instid1(VALU_DEP_1)
	v_fma_f64 v[64:65], -v[110:111], v[114:115], 1.0
	v_fmac_f64_e32 v[114:115], v[114:115], v[64:65]
	v_div_scale_f64 v[64:65], vcc_lo, v[92:93], v[102:103], v[92:93]
	s_delay_alu instid0(VALU_DEP_1) | instskip(NEXT) | instid1(VALU_DEP_1)
	v_mul_f64_e32 v[66:67], v[64:65], v[114:115]
	v_fma_f64 v[64:65], -v[110:111], v[66:67], v[64:65]
	v_fma_f64 v[110:111], v[76:77], s[18:19], -v[62:63]
	s_wait_loadcnt 0x1
	v_mul_f64_e32 v[24:25], v[24:25], v[44:45]
	s_delay_alu instid0(VALU_DEP_3) | instskip(SKIP_1) | instid1(VALU_DEP_4)
	v_div_fmas_f64 v[64:65], v[64:65], v[114:115], v[66:67]
	v_fma_f64 v[114:115], v[82:83], s[18:19], -v[60:61]
	v_fmac_f64_e32 v[110:111], 0xbfa17cc48676f310, v[84:85]
	scratch_store_b64 off, v[24:25], off offset:120 ; 8-byte Folded Spill
	v_mul_f64_e32 v[56:57], 0x3f71965965965970, v[24:25]
	scratch_load_b64 v[24:25], off, off offset:48 ; 8-byte Folded Reload
	v_div_fixup_f64 v[64:65], v[64:65], v[102:103], v[92:93]
	s_delay_alu instid0(VALU_DEP_1) | instskip(NEXT) | instid1(VALU_DEP_1)
	v_fmac_f64_e32 v[64:65], s[8:9], v[116:117]
	v_mul_f64_e64 v[64:65], v[122:123], -v[64:65]
	s_delay_alu instid0(VALU_DEP_1) | instskip(SKIP_4) | instid1(VALU_DEP_2)
	v_mul_f64_e32 v[92:93], v[44:45], v[64:65]
	v_mov_b64_e32 v[64:65], 0x3e21eeb69037ab78
	s_wait_loadcnt 0x0
	v_mul_f64_e64 v[100:101], v[44:45], -v[24:25]
	v_mul_f64_e32 v[24:25], s[8:9], v[116:117]
	v_mul_f64_e32 v[58:59], 0x3f71965965965970, v[100:101]
	s_delay_alu instid0(VALU_DEP_2) | instskip(SKIP_1) | instid1(VALU_DEP_2)
	v_fma_f64 v[24:25], -v[32:33], v[24:25], v[124:125]
	v_fma_f64 v[124:125], v[74:75], s[18:19], -v[12:13]
	v_fma_f64 v[66:67], v[24:25], v[122:123], 1.0
	v_fma_f64 v[24:25], v[78:79], s[18:19], -v[10:11]
	v_mul_f64_e32 v[10:11], v[40:41], v[108:109]
	v_fma_f64 v[122:123], v[92:93], s[18:19], -v[56:57]
	v_fmac_f64_e32 v[124:125], 0xbfa17cc48676f310, v[80:81]
	v_mul_f64_e64 v[102:103], v[44:45], -v[66:67]
	v_fmac_f64_e32 v[24:25], 0xbfa17cc48676f310, v[86:87]
	v_div_scale_f64 v[12:13], null, v[10:11], v[10:11], 1.0
	v_mov_b64_e32 v[66:67], v[98:99]
	v_fmac_f64_e32 v[124:125], 0xbf93c92492492492, v[54:55]
	v_fma_f64 v[116:117], v[102:103], s[18:19], -v[58:59]
	s_delay_alu instid0(VALU_DEP_4) | instskip(SKIP_1) | instid1(TRANS32_DEP_1)
	v_rcp_f64_e32 v[40:41], v[12:13]
	v_nop
	v_fma_f64 v[56:57], -v[12:13], v[40:41], 1.0
	s_delay_alu instid0(VALU_DEP_1) | instskip(NEXT) | instid1(VALU_DEP_1)
	v_fmac_f64_e32 v[40:41], v[40:41], v[56:57]
	v_fma_f64 v[56:57], -v[12:13], v[40:41], 1.0
	s_delay_alu instid0(VALU_DEP_1) | instskip(SKIP_1) | instid1(VALU_DEP_1)
	v_fmac_f64_e32 v[40:41], v[40:41], v[56:57]
	v_div_scale_f64 v[56:57], vcc_lo, 1.0, v[10:11], 1.0
	v_mul_f64_e32 v[58:59], v[56:57], v[40:41]
	s_delay_alu instid0(VALU_DEP_1) | instskip(NEXT) | instid1(VALU_DEP_1)
	v_fma_f64 v[12:13], -v[12:13], v[58:59], v[56:57]
	v_div_fmas_f64 v[12:13], v[12:13], v[40:41], v[58:59]
	v_add_f64_e64 v[40:41], v[108:109], -v[4:5]
	s_delay_alu instid0(VALU_DEP_2) | instskip(NEXT) | instid1(VALU_DEP_2)
	v_div_fixup_f64 v[10:11], v[12:13], v[10:11], 1.0
	v_mul_f64_e32 v[40:41], v[32:33], v[40:41]
	v_mul_f64_e32 v[12:13], s[8:9], v[4:5]
	s_delay_alu instid0(VALU_DEP_2) | instskip(NEXT) | instid1(VALU_DEP_1)
	v_div_scale_f64 v[56:57], null, v[6:7], v[6:7], v[40:41]
	v_rcp_f64_e32 v[58:59], v[56:57]
	v_nop
	s_delay_alu instid0(TRANS32_DEP_1) | instskip(NEXT) | instid1(VALU_DEP_1)
	v_fma_f64 v[60:61], -v[56:57], v[58:59], 1.0
	v_fmac_f64_e32 v[58:59], v[58:59], v[60:61]
	s_delay_alu instid0(VALU_DEP_1) | instskip(NEXT) | instid1(VALU_DEP_1)
	v_fma_f64 v[60:61], -v[56:57], v[58:59], 1.0
	v_fmac_f64_e32 v[58:59], v[58:59], v[60:61]
	v_div_scale_f64 v[60:61], vcc_lo, v[40:41], v[6:7], v[40:41]
	s_delay_alu instid0(VALU_DEP_1) | instskip(NEXT) | instid1(VALU_DEP_1)
	v_mul_f64_e32 v[62:63], v[60:61], v[58:59]
	v_fma_f64 v[56:57], -v[56:57], v[62:63], v[60:61]
	s_delay_alu instid0(VALU_DEP_1) | instskip(NEXT) | instid1(VALU_DEP_1)
	v_div_fmas_f64 v[56:57], v[56:57], v[58:59], v[62:63]
	v_div_fixup_f64 v[6:7], v[56:57], v[6:7], v[40:41]
	v_add_f64_e32 v[40:41], v[8:9], v[106:107]
	v_add_f64_e32 v[56:57], v[16:17], v[16:17]
	s_delay_alu instid0(VALU_DEP_3) | instskip(NEXT) | instid1(VALU_DEP_3)
	v_fmac_f64_e32 v[6:7], s[8:9], v[4:5]
	v_mul_f64_e32 v[4:5], v[4:5], v[40:41]
	v_add_f64_e32 v[40:41], -1.0, v[104:105]
	s_delay_alu instid0(VALU_DEP_4) | instskip(NEXT) | instid1(VALU_DEP_3)
	v_mul_f64_e32 v[16:17], v[16:17], v[56:57]
	v_fma_f64 v[12:13], -v[32:33], v[12:13], v[4:5]
	s_delay_alu instid0(VALU_DEP_3) | instskip(NEXT) | instid1(VALU_DEP_3)
	v_fma_f64 v[4:5], -v[30:31], v[40:41], v[4:5]
	v_mul_f64_e32 v[16:17], v[40:41], v[16:17]
	s_delay_alu instid0(VALU_DEP_3) | instskip(NEXT) | instid1(VALU_DEP_3)
	v_fma_f64 v[12:13], v[12:13], v[10:11], 1.0
	v_add_f64_e64 v[4:5], v[4:5], -v[98:99]
	s_delay_alu instid0(VALU_DEP_3) | instskip(SKIP_1) | instid1(VALU_DEP_4)
	v_mul_f64_e32 v[16:17], v[16:17], v[126:127]
	v_mov_b64_e32 v[126:127], 0xbe5ae600b42fdfa7
	v_mul_f64_e64 v[106:107], v[44:45], -v[12:13]
	v_mul_f64_e32 v[12:13], 0.5, v[120:121]
	s_delay_alu instid0(VALU_DEP_4) | instskip(NEXT) | instid1(VALU_DEP_3)
	v_fma_f64 v[4:5], v[4:5], v[10:11], -v[16:17]
	v_fmac_f64_e32 v[116:117], 0xbfa17cc48676f310, v[106:107]
	s_delay_alu instid0(VALU_DEP_2) | instskip(SKIP_2) | instid1(VALU_DEP_2)
	v_mul_f64_e64 v[108:109], v[44:45], -v[4:5]
	v_dual_lshlrev_b32 v0, 30, v0 :: v_dual_bitop2_b32 v4, 1, v0 bitop3:0x40
	v_mul_f64_e64 v[6:7], v[10:11], -v[6:7]
	v_cmp_eq_u32_e32 vcc_lo, 0, v4
	s_delay_alu instid0(VALU_DEP_3) | instskip(SKIP_3) | instid1(VALU_DEP_4)
	v_dual_mul_f64 v[4:5], v[118:119], v[118:119] :: v_dual_bitop2_b32 v0, v0, v97 bitop3:0x14
	v_fmac_f64_e32 v[38:39], 0x3ff4bda12f684bda, v[108:109]
	v_fmac_f64_e32 v[114:115], 0xbfa17cc48676f310, v[108:109]
	v_mul_f64_e32 v[104:105], v[44:45], v[6:7]
	v_mul_f64_e64 v[6:7], v[118:119], -v[4:5]
	v_fmamk_f64 v[10:11], v[4:5], 0x3de5e0b2f9a43bb8, v[126:127]
	v_fmamk_f64 v[40:41], v[4:5], 0xbda907db46cc5e42, v[64:65]
	v_mul_f64_e32 v[16:17], v[4:5], v[4:5]
	s_delay_alu instid0(VALU_DEP_3) | instskip(NEXT) | instid1(VALU_DEP_3)
	v_fmaak_f64 v[10:11], v[4:5], v[10:11], 0x3ec71de3796cde01
	v_fmaak_f64 v[40:41], v[4:5], v[40:41], 0xbe927e4fa17f65f6
	s_delay_alu instid0(VALU_DEP_2) | instskip(NEXT) | instid1(VALU_DEP_2)
	v_fmaak_f64 v[10:11], v[4:5], v[10:11], 0xbf2a01a019e83e5c
	v_fmaak_f64 v[40:41], v[4:5], v[40:41], 0x3efa01a019f4ec90
	s_delay_alu instid0(VALU_DEP_2) | instskip(NEXT) | instid1(VALU_DEP_2)
	v_fmaak_f64 v[10:11], v[4:5], v[10:11], 0x3f81111111110bb3
	v_fmaak_f64 v[40:41], v[4:5], v[40:41], 0xbf56c16c16c16967
	v_fmac_f64_e32 v[122:123], 0xbfa17cc48676f310, v[104:105]
	s_delay_alu instid0(VALU_DEP_3) | instskip(NEXT) | instid1(VALU_DEP_1)
	v_fmac_f64_e32 v[12:13], v[6:7], v[10:11]
	v_fma_f64 v[10:11], v[4:5], v[12:13], -v[120:121]
	s_delay_alu instid0(VALU_DEP_1) | instskip(NEXT) | instid1(VALU_DEP_1)
	v_fmac_f64_e32 v[10:11], 0xbfc5555555555555, v[6:7]
	v_add_f64_e64 v[6:7], v[118:119], -v[10:11]
	v_mul_f64_e32 v[10:11], 0.5, v[4:5]
	v_fmaak_f64 v[4:5], v[4:5], v[40:41], 0x3fa5555555555555
	s_delay_alu instid0(VALU_DEP_2) | instskip(NEXT) | instid1(VALU_DEP_1)
	v_add_f64_e64 v[12:13], -v[10:11], 1.0
	v_add_f64_e64 v[40:41], -v[12:13], 1.0
	s_delay_alu instid0(VALU_DEP_1) | instskip(NEXT) | instid1(VALU_DEP_1)
	v_add_f64_e64 v[10:11], v[40:41], -v[10:11]
	v_fma_f64 v[10:11], v[118:119], -v[120:121], v[10:11]
	s_delay_alu instid0(VALU_DEP_1) | instskip(NEXT) | instid1(VALU_DEP_1)
	v_fmac_f64_e32 v[10:11], v[16:17], v[4:5]
	v_add_f64_e32 v[4:5], v[12:13], v[10:11]
	v_fma_f64 v[12:13], -2.0, v[2:3], v[46:47]
	v_add_f64_e32 v[10:11], v[2:3], v[2:3]
	v_add_f64_e32 v[46:47], v[8:9], v[46:47]
	s_delay_alu instid0(VALU_DEP_4) | instskip(NEXT) | instid1(VALU_DEP_4)
	v_cndmask_b32_e32 v4, v4, v6, vcc_lo
	v_add_f64_e32 v[12:13], v[8:9], v[12:13]
	s_delay_alu instid0(VALU_DEP_2) | instskip(NEXT) | instid1(VALU_DEP_1)
	v_dual_cndmask_b32 v5, v5, v7, vcc_lo :: v_dual_cndmask_b32 v4, 0, v4, s0
	v_bitop3_b32 v0, v5, v0, 0x80000000 bitop3:0x78
	s_delay_alu instid0(VALU_DEP_1) | instskip(SKIP_1) | instid1(VALU_DEP_2)
	v_cndmask_b32_e64 v5, 0x7ff80000, v0, s0
	v_and_b32_e32 v0, 1, v96
	v_mul_f64_e32 v[6:7], v[4:5], v[4:5]
	v_cmp_gt_f64_e64 s0, s[16:17], v[4:5]
	v_mul_f64_e32 v[16:17], v[12:13], v[50:51]
	v_fmac_f64_e32 v[50:51], -2.0, v[2:3]
	v_mul_f64_e64 v[12:13], v[12:13], -v[38:39]
	v_add_f64_e32 v[2:3], -1.0, v[2:3]
	v_cndmask_b32_e64 v7, v7, 0x3c9cd2b2, s0
	v_cndmask_b32_e64 v6, v6, 0x97d889bc, s0
	;; [unrolled: 1-line block ×4, first 2 shown]
	v_cmp_eq_u32_e64 s0, 0, v0
	s_delay_alu instid0(VALU_DEP_2) | instskip(SKIP_3) | instid1(VALU_DEP_3)
	v_mul_f64_e64 v[4:5], -v[4:5], v[20:21]
	v_div_scale_f64 v[40:41], null, v[16:17], v[16:17], 1.0
	v_mul_f64_e32 v[50:51], v[32:33], v[50:51]
	v_mul_f64_e32 v[12:13], v[12:13], v[52:53]
	v_rcp_f64_e32 v[56:57], v[40:41]
	v_nop
	s_delay_alu instid0(TRANS32_DEP_1) | instskip(NEXT) | instid1(VALU_DEP_1)
	v_fma_f64 v[58:59], -v[40:41], v[56:57], 1.0
	v_fmac_f64_e32 v[56:57], v[56:57], v[58:59]
	s_delay_alu instid0(VALU_DEP_1) | instskip(NEXT) | instid1(VALU_DEP_1)
	v_fma_f64 v[58:59], -v[40:41], v[56:57], 1.0
	v_fmac_f64_e32 v[56:57], v[56:57], v[58:59]
	v_div_scale_f64 v[58:59], vcc_lo, 1.0, v[16:17], 1.0
	s_delay_alu instid0(VALU_DEP_1) | instskip(NEXT) | instid1(VALU_DEP_1)
	v_mul_f64_e32 v[60:61], v[58:59], v[56:57]
	v_fma_f64 v[40:41], -v[40:41], v[60:61], v[58:59]
	s_delay_alu instid0(VALU_DEP_1) | instskip(SKIP_1) | instid1(VALU_DEP_2)
	v_div_fmas_f64 v[40:41], v[40:41], v[56:57], v[60:61]
	v_div_scale_f64 v[56:57], null, v[6:7], v[6:7], v[50:51]
	v_div_fixup_f64 v[16:17], v[40:41], v[16:17], 1.0
	s_delay_alu instid0(VALU_DEP_2) | instskip(SKIP_1) | instid1(TRANS32_DEP_1)
	v_rcp_f64_e32 v[58:59], v[56:57]
	v_mul_f64_e32 v[40:41], s[8:9], v[10:11]
	v_fma_f64 v[60:61], -v[56:57], v[58:59], 1.0
	s_delay_alu instid0(VALU_DEP_1) | instskip(NEXT) | instid1(VALU_DEP_1)
	v_fmac_f64_e32 v[58:59], v[58:59], v[60:61]
	v_fma_f64 v[60:61], -v[56:57], v[58:59], 1.0
	s_delay_alu instid0(VALU_DEP_1) | instskip(SKIP_1) | instid1(VALU_DEP_1)
	v_fmac_f64_e32 v[58:59], v[58:59], v[60:61]
	v_div_scale_f64 v[60:61], vcc_lo, v[50:51], v[6:7], v[50:51]
	v_mul_f64_e32 v[62:63], v[60:61], v[58:59]
	s_delay_alu instid0(VALU_DEP_1) | instskip(NEXT) | instid1(VALU_DEP_1)
	v_fma_f64 v[56:57], -v[56:57], v[62:63], v[60:61]
	v_div_fmas_f64 v[56:57], v[56:57], v[58:59], v[62:63]
	scratch_load_b64 v[62:63], off, off offset:24 ; 8-byte Folded Reload
	v_div_fixup_f64 v[50:51], v[56:57], v[6:7], v[50:51]
	v_mul_f64_e32 v[6:7], v[6:7], v[6:7]
	s_delay_alu instid0(VALU_DEP_2) | instskip(SKIP_2) | instid1(VALU_DEP_3)
	v_fmac_f64_e32 v[50:51], s[8:9], v[10:11]
	v_mul_f64_e32 v[10:11], v[10:11], v[46:47]
	v_add_f64_e32 v[46:47], v[38:39], v[38:39]
	v_mul_f64_e32 v[50:51], v[16:17], v[50:51]
	s_delay_alu instid0(VALU_DEP_3) | instskip(NEXT) | instid1(VALU_DEP_3)
	v_fma_f64 v[40:41], -v[32:33], v[40:41], v[10:11]
	v_mul_f64_e32 v[38:39], v[38:39], v[46:47]
	v_fma_f64 v[10:11], -v[30:31], v[2:3], v[10:11]
	s_delay_alu instid0(VALU_DEP_3) | instskip(NEXT) | instid1(VALU_DEP_3)
	v_fma_f64 v[40:41], v[40:41], v[16:17], 1.0
	v_mul_f64_e32 v[2:3], v[2:3], v[38:39]
	s_delay_alu instid0(VALU_DEP_3) | instskip(NEXT) | instid1(VALU_DEP_2)
	v_add_f64_e64 v[10:11], v[10:11], -v[98:99]
	v_mul_f64_e32 v[2:3], v[2:3], v[52:53]
	s_delay_alu instid0(VALU_DEP_1) | instskip(SKIP_1) | instid1(VALU_DEP_1)
	v_fma_f64 v[2:3], v[10:11], v[16:17], -v[2:3]
	v_div_scale_f64 v[10:11], null, v[6:7], v[6:7], v[34:35]
	v_rcp_f64_e32 v[16:17], v[10:11]
	v_nop
	s_delay_alu instid0(TRANS32_DEP_1) | instskip(NEXT) | instid1(VALU_DEP_1)
	v_fma_f64 v[20:21], -v[10:11], v[16:17], 1.0
	v_fmac_f64_e32 v[16:17], v[16:17], v[20:21]
	s_delay_alu instid0(VALU_DEP_1) | instskip(NEXT) | instid1(VALU_DEP_1)
	v_fma_f64 v[20:21], -v[10:11], v[16:17], 1.0
	v_fmac_f64_e32 v[16:17], v[16:17], v[20:21]
	v_div_scale_f64 v[20:21], vcc_lo, v[34:35], v[6:7], v[34:35]
	s_delay_alu instid0(VALU_DEP_1) | instskip(NEXT) | instid1(VALU_DEP_1)
	v_mul_f64_e32 v[38:39], v[20:21], v[16:17]
	v_fma_f64 v[10:11], -v[10:11], v[38:39], v[20:21]
	v_mul_f64_e32 v[20:21], 0.5, v[22:23]
	s_delay_alu instid0(VALU_DEP_2) | instskip(SKIP_3) | instid1(VALU_DEP_2)
	v_div_fmas_f64 v[10:11], v[10:11], v[16:17], v[38:39]
	s_wait_loadcnt 0x0
	v_fmamk_f64 v[16:17], v[68:69], 0x3f9e3425ed097b42, v[62:63]
	v_cmp_class_f64_e64 vcc_lo, v[112:113], 0x1f8
	v_fmac_f64_e32 v[16:17], 0x3fd5e000, v[90:91]
	s_delay_alu instid0(VALU_DEP_4) | instskip(SKIP_1) | instid1(VALU_DEP_3)
	v_div_fixup_f64 v[6:7], v[10:11], v[6:7], v[34:35]
	v_mul_f64_e32 v[10:11], v[44:45], v[12:13]
	v_fmac_f64_e32 v[16:17], 0x3fa54bda12f684be, v[76:77]
	s_delay_alu instid0(VALU_DEP_3) | instskip(NEXT) | instid1(VALU_DEP_3)
	v_add_f64_e64 v[6:7], v[6:7], -v[8:9]
	v_fmac_f64_e32 v[24:25], 0xbf93c92492492492, v[10:11]
	s_delay_alu instid0(VALU_DEP_3) | instskip(NEXT) | instid1(VALU_DEP_3)
	v_fmac_f64_e32 v[16:17], 0x3fd99f425ed097b4, v[84:85]
	v_mul_f64_e32 v[4:5], v[6:7], v[4:5]
	v_mul_f64_e32 v[6:7], v[44:45], v[50:51]
	s_delay_alu instid0(VALU_DEP_2) | instskip(NEXT) | instid1(VALU_DEP_2)
	v_mul_f64_e32 v[4:5], v[4:5], v[52:53]
	v_fmac_f64_e32 v[122:123], 0x3f93c92492492492, v[6:7]
	v_mul_f64_e32 v[6:7], v[44:45], v[40:41]
	s_delay_alu instid0(VALU_DEP_1) | instskip(SKIP_3) | instid1(VALU_DEP_3)
	v_fmac_f64_e32 v[116:117], 0x3f93c92492492492, v[6:7]
	v_mul_f64_e64 v[6:7], v[44:45], -v[2:3]
	v_mul_f64_e32 v[2:3], v[44:45], v[4:5]
	v_mul_f64_e32 v[4:5], v[14:15], v[14:15]
	v_fmac_f64_e32 v[114:115], 0xbf93c92492492492, v[6:7]
	s_delay_alu instid0(VALU_DEP_3)
	v_fmac_f64_e32 v[110:111], 0xbf93c92492492492, v[2:3]
	v_fmac_f64_e32 v[16:17], 0x3fafa000, v[2:3]
	v_fmamk_f64 v[2:3], v[72:73], 0x3f9e3425ed097b42, v[28:29]
	v_fmamk_f64 v[12:13], v[4:5], 0x3de5e0b2f9a43bb8, v[126:127]
	v_fmamk_f64 v[40:41], v[4:5], 0xbda907db46cc5e42, v[64:65]
	v_mul_f64_e32 v[38:39], v[4:5], v[4:5]
	s_delay_alu instid0(VALU_DEP_4) | instskip(NEXT) | instid1(VALU_DEP_4)
	v_fmac_f64_e32 v[2:3], 0x3fd5e000, v[94:95]
	v_fmaak_f64 v[12:13], v[4:5], v[12:13], 0x3ec71de3796cde01
	s_delay_alu instid0(VALU_DEP_4) | instskip(NEXT) | instid1(VALU_DEP_2)
	v_fmaak_f64 v[40:41], v[4:5], v[40:41], 0xbe927e4fa17f65f6
	v_fmaak_f64 v[12:13], v[4:5], v[12:13], 0xbf2a01a019e83e5c
	s_delay_alu instid0(VALU_DEP_2) | instskip(NEXT) | instid1(VALU_DEP_2)
	v_fmaak_f64 v[40:41], v[4:5], v[40:41], 0x3efa01a019f4ec90
	v_fmaak_f64 v[12:13], v[4:5], v[12:13], 0x3f81111111110bb3
	s_delay_alu instid0(VALU_DEP_2) | instskip(SKIP_1) | instid1(VALU_DEP_1)
	v_fmaak_f64 v[40:41], v[4:5], v[40:41], 0xbf56c16c16c16967
	v_fmac_f64_e32 v[2:3], 0x3fa54bda12f684be, v[82:83]
	v_fmac_f64_e32 v[2:3], 0x3fd99f425ed097b4, v[108:109]
	s_delay_alu instid0(VALU_DEP_1) | instskip(SKIP_1) | instid1(VALU_DEP_1)
	v_fmac_f64_e32 v[2:3], 0x3fafa000, v[6:7]
	v_fmamk_f64 v[6:7], v[70:71], 0x3f9e3425ed097b42, v[36:37]
	v_fmac_f64_e32 v[6:7], 0x3fd5e000, v[88:89]
	s_delay_alu instid0(VALU_DEP_1) | instskip(NEXT) | instid1(VALU_DEP_1)
	v_fmac_f64_e32 v[6:7], 0x3fa54bda12f684be, v[78:79]
	v_fmac_f64_e32 v[6:7], 0x3fd99f425ed097b4, v[86:87]
	s_delay_alu instid0(VALU_DEP_1) | instskip(SKIP_1) | instid1(VALU_DEP_1)
	v_fmac_f64_e32 v[6:7], 0x3fafa000, v[10:11]
	v_mul_f64_e64 v[10:11], v[14:15], -v[4:5]
	v_fmac_f64_e32 v[20:21], v[10:11], v[12:13]
	s_delay_alu instid0(VALU_DEP_1) | instskip(NEXT) | instid1(VALU_DEP_1)
	v_fma_f64 v[12:13], v[4:5], v[20:21], -v[22:23]
	v_fmac_f64_e32 v[12:13], 0xbfc5555555555555, v[10:11]
	s_delay_alu instid0(VALU_DEP_1) | instskip(SKIP_2) | instid1(VALU_DEP_2)
	v_add_f64_e64 v[10:11], v[14:15], -v[12:13]
	v_mul_f64_e32 v[12:13], 0.5, v[4:5]
	v_fmaak_f64 v[4:5], v[4:5], v[40:41], 0x3fa5555555555555
	v_add_f64_e64 v[20:21], -v[12:13], 1.0
	s_delay_alu instid0(VALU_DEP_1) | instskip(NEXT) | instid1(VALU_DEP_1)
	v_add_f64_e64 v[40:41], -v[20:21], 1.0
	v_add_f64_e64 v[12:13], v[40:41], -v[12:13]
	s_delay_alu instid0(VALU_DEP_1) | instskip(NEXT) | instid1(VALU_DEP_1)
	v_fma_f64 v[12:13], v[14:15], -v[22:23], v[12:13]
	v_fmac_f64_e32 v[12:13], v[38:39], v[4:5]
	s_delay_alu instid0(VALU_DEP_1) | instskip(NEXT) | instid1(VALU_DEP_1)
	v_add_f64_e32 v[4:5], v[20:21], v[12:13]
	v_dual_cndmask_b32 v0, v4, v10, s0 :: v_dual_cndmask_b32 v4, v5, v11, s0
	v_lshlrev_b32_e32 v5, 30, v96
	s_delay_alu instid0(VALU_DEP_1) | instskip(NEXT) | instid1(VALU_DEP_1)
	v_dual_cndmask_b32 v14, 0, v0, vcc_lo :: v_dual_bitop2_b32 v5, v5, v113 bitop3:0x14
	v_bitop3_b32 v4, v4, v5, 0x80000000 bitop3:0x78
	s_delay_alu instid0(VALU_DEP_1) | instskip(SKIP_1) | instid1(VALU_DEP_1)
	v_cndmask_b32_e32 v15, 0x7ff80000, v4, vcc_lo
	v_mul_f64_e32 v[4:5], v[18:19], v[18:19]
	v_mul_f64_e32 v[10:11], 0.5, v[4:5]
	v_fmamk_f64 v[22:23], v[4:5], 0xbda907db46cc5e42, v[64:65]
	s_delay_alu instid0(VALU_DEP_1) | instskip(NEXT) | instid1(VALU_DEP_1)
	v_fmaak_f64 v[22:23], v[4:5], v[22:23], 0xbe927e4fa17f65f6
	v_fmaak_f64 v[22:23], v[4:5], v[22:23], 0x3efa01a019f4ec90
	s_delay_alu instid0(VALU_DEP_1) | instskip(NEXT) | instid1(VALU_DEP_1)
	v_fmaak_f64 v[22:23], v[4:5], v[22:23], 0xbf56c16c16c16967
	v_fmaak_f64 v[22:23], v[4:5], v[22:23], 0x3fa5555555555555
	v_add_f64_e64 v[12:13], -v[10:11], 1.0
	s_delay_alu instid0(VALU_DEP_1) | instskip(NEXT) | instid1(VALU_DEP_1)
	v_add_f64_e64 v[20:21], -v[12:13], 1.0
	v_add_f64_e64 v[10:11], v[20:21], -v[10:11]
	v_mul_f64_e32 v[20:21], v[4:5], v[4:5]
	s_delay_alu instid0(VALU_DEP_2) | instskip(NEXT) | instid1(VALU_DEP_1)
	v_fma_f64 v[10:11], v[18:19], -v[48:49], v[10:11]
	v_fmac_f64_e32 v[10:11], v[20:21], v[22:23]
	v_mul_f64_e64 v[22:23], v[18:19], -v[4:5]
	s_delay_alu instid0(VALU_DEP_2) | instskip(SKIP_2) | instid1(VALU_DEP_1)
	v_add_f64_e32 v[20:21], v[12:13], v[10:11]
	v_mul_f64_e32 v[12:13], 0.5, v[48:49]
	v_fmamk_f64 v[10:11], v[4:5], 0x3de5e0b2f9a43bb8, v[126:127]
	v_fmaak_f64 v[10:11], v[4:5], v[10:11], 0x3ec71de3796cde01
	s_delay_alu instid0(VALU_DEP_1) | instskip(NEXT) | instid1(VALU_DEP_1)
	v_fmaak_f64 v[10:11], v[4:5], v[10:11], 0xbf2a01a019e83e5c
	v_fmaak_f64 v[10:11], v[4:5], v[10:11], 0x3f81111111110bb3
	s_delay_alu instid0(VALU_DEP_1) | instskip(NEXT) | instid1(VALU_DEP_1)
	v_fmac_f64_e32 v[12:13], v[22:23], v[10:11]
	v_fma_f64 v[38:39], v[4:5], v[12:13], -v[48:49]
	s_delay_alu instid0(VALU_DEP_1) | instskip(NEXT) | instid1(VALU_DEP_1)
	v_fmac_f64_e32 v[38:39], 0xbfc5555555555555, v[22:23]
	v_add_f64_e64 v[4:5], v[18:19], -v[38:39]
	s_delay_alu instid0(VALU_DEP_1) | instskip(SKIP_1) | instid1(VALU_DEP_1)
	v_xor_b32_e32 v0, 0x80000000, v5
	v_dual_lshlrev_b32 v1, 30, v1 :: v_dual_bitop2_b32 v5, 1, v1 bitop3:0x40
	v_cmp_eq_u32_e64 s0, 0, v5
	s_delay_alu instid0(VALU_DEP_1) | instskip(SKIP_2) | instid1(VALU_DEP_3)
	v_cndmask_b32_e64 v0, v0, v21, s0
	v_cndmask_b32_e64 v4, v4, v20, s0
	v_cmp_gt_f64_e64 s0, s[16:17], v[14:15]
	v_bitop3_b32 v0, v0, v1, 0x80000000 bitop3:0x78
	s_delay_alu instid0(VALU_DEP_3) | instskip(NEXT) | instid1(VALU_DEP_2)
	v_dual_add_f64 v[4:5], v[6:7], v[6:7] :: v_dual_cndmask_b32 v46, 0, v4, vcc_lo
	v_cndmask_b32_e32 v47, 0x7ff80000, v0, vcc_lo
	v_mul_f64_e32 v[0:1], v[14:15], v[14:15]
	s_delay_alu instid0(VALU_DEP_3) | instskip(NEXT) | instid1(VALU_DEP_2)
	v_fma_f64 v[10:11], v[6:7], v[6:7], -v[4:5]
	v_cndmask_b32_e64 v21, v1, 0x3c9cd2b2, s0
	s_delay_alu instid0(VALU_DEP_3) | instskip(SKIP_1) | instid1(VALU_DEP_4)
	v_cndmask_b32_e64 v20, v0, 0x97d889bc, s0
	v_mul_f64_e32 v[0:1], v[46:47], v[46:47]
	v_add_f64_e32 v[10:11], v[8:9], v[10:11]
	s_delay_alu instid0(VALU_DEP_2) | instskip(NEXT) | instid1(VALU_DEP_1)
	v_mul_f64_e32 v[0:1], v[8:9], v[0:1]
	v_fmac_f64_e32 v[0:1], v[6:7], v[6:7]
	s_delay_alu instid0(VALU_DEP_1) | instskip(SKIP_1) | instid1(VALU_DEP_2)
	v_mul_f64_e32 v[12:13], v[10:11], v[0:1]
	v_mul_f64_e64 v[10:11], v[10:11], -v[2:3]
	v_div_scale_f64 v[18:19], null, v[12:13], v[12:13], 1.0
	s_delay_alu instid0(VALU_DEP_1) | instskip(SKIP_1) | instid1(TRANS32_DEP_1)
	v_rcp_f64_e32 v[22:23], v[18:19]
	v_nop
	v_fma_f64 v[38:39], -v[18:19], v[22:23], 1.0
	s_delay_alu instid0(VALU_DEP_1) | instskip(NEXT) | instid1(VALU_DEP_1)
	v_fmac_f64_e32 v[22:23], v[22:23], v[38:39]
	v_fma_f64 v[38:39], -v[18:19], v[22:23], 1.0
	s_delay_alu instid0(VALU_DEP_1) | instskip(SKIP_1) | instid1(VALU_DEP_1)
	v_fmac_f64_e32 v[22:23], v[22:23], v[38:39]
	v_div_scale_f64 v[38:39], vcc_lo, 1.0, v[12:13], 1.0
	v_mul_f64_e32 v[40:41], v[38:39], v[22:23]
	s_delay_alu instid0(VALU_DEP_1) | instskip(NEXT) | instid1(VALU_DEP_1)
	v_fma_f64 v[18:19], -v[18:19], v[40:41], v[38:39]
	v_div_fmas_f64 v[18:19], v[18:19], v[22:23], v[40:41]
	s_delay_alu instid0(VALU_DEP_1) | instskip(SKIP_1) | instid1(VALU_DEP_1)
	v_div_fixup_f64 v[12:13], v[18:19], v[12:13], 1.0
	v_div_scale_f64 v[18:19], null, v[0:1], v[0:1], 1.0
	v_rcp_f64_e32 v[22:23], v[18:19]
	v_nop
	s_delay_alu instid0(TRANS32_DEP_1) | instskip(NEXT) | instid1(VALU_DEP_1)
	v_fma_f64 v[38:39], -v[18:19], v[22:23], 1.0
	v_fmac_f64_e32 v[22:23], v[22:23], v[38:39]
	s_delay_alu instid0(VALU_DEP_1) | instskip(NEXT) | instid1(VALU_DEP_1)
	v_fma_f64 v[38:39], -v[18:19], v[22:23], 1.0
	v_fmac_f64_e32 v[22:23], v[22:23], v[38:39]
	v_div_scale_f64 v[38:39], vcc_lo, 1.0, v[0:1], 1.0
	s_delay_alu instid0(VALU_DEP_1) | instskip(NEXT) | instid1(VALU_DEP_1)
	v_mul_f64_e32 v[40:41], v[38:39], v[22:23]
	v_fma_f64 v[18:19], -v[18:19], v[40:41], v[38:39]
	s_delay_alu instid0(VALU_DEP_1) | instskip(NEXT) | instid1(VALU_DEP_1)
	v_div_fmas_f64 v[18:19], v[18:19], v[22:23], v[40:41]
	v_div_fixup_f64 v[48:49], v[18:19], v[0:1], 1.0
	v_fmac_f64_e32 v[0:1], -2.0, v[6:7]
	s_delay_alu instid0(VALU_DEP_2) | instskip(NEXT) | instid1(VALU_DEP_2)
	v_mul_f64_e32 v[18:19], v[10:11], v[48:49]
	v_mul_f64_e32 v[0:1], v[32:33], v[0:1]
	;; [unrolled: 1-line block ×3, first 2 shown]
	v_mul_f64_e64 v[16:17], v[48:49], -v[16:17]
	s_delay_alu instid0(VALU_DEP_4) | instskip(NEXT) | instid1(VALU_DEP_4)
	v_mul_f64_e32 v[18:19], v[44:45], v[18:19]
	v_div_scale_f64 v[22:23], null, v[20:21], v[20:21], v[0:1]
	s_delay_alu instid0(VALU_DEP_2) | instskip(NEXT) | instid1(VALU_DEP_2)
	v_fmac_f64_e32 v[24:25], 0x3fa405342ed5a580, v[18:19]
	v_rcp_f64_e32 v[38:39], v[22:23]
	v_nop
	s_delay_alu instid0(TRANS32_DEP_1) | instskip(NEXT) | instid1(VALU_DEP_1)
	v_fma_f64 v[40:41], -v[22:23], v[38:39], 1.0
	v_fmac_f64_e32 v[38:39], v[38:39], v[40:41]
	s_delay_alu instid0(VALU_DEP_1) | instskip(NEXT) | instid1(VALU_DEP_1)
	v_fma_f64 v[40:41], -v[22:23], v[38:39], 1.0
	v_fmac_f64_e32 v[38:39], v[38:39], v[40:41]
	v_div_scale_f64 v[40:41], vcc_lo, v[0:1], v[20:21], v[0:1]
	s_delay_alu instid0(VALU_DEP_1) | instskip(NEXT) | instid1(VALU_DEP_1)
	v_mul_f64_e32 v[50:51], v[40:41], v[38:39]
	v_fma_f64 v[22:23], -v[22:23], v[50:51], v[40:41]
	s_delay_alu instid0(VALU_DEP_1) | instskip(NEXT) | instid1(VALU_DEP_1)
	v_div_fmas_f64 v[22:23], v[22:23], v[38:39], v[50:51]
	v_div_fixup_f64 v[0:1], v[22:23], v[20:21], v[0:1]
	s_delay_alu instid0(VALU_DEP_1) | instskip(NEXT) | instid1(VALU_DEP_1)
	v_fmac_f64_e32 v[0:1], s[8:9], v[4:5]
	v_mul_f64_e64 v[22:23], v[12:13], -v[0:1]
	v_fma_f64 v[0:1], v[6:7], v[6:7], v[8:9]
	s_delay_alu instid0(VALU_DEP_1) | instskip(NEXT) | instid1(VALU_DEP_1)
	v_mul_f64_e32 v[0:1], v[4:5], v[0:1]
	v_fma_f64 v[4:5], -v[32:33], v[10:11], v[0:1]
	s_delay_alu instid0(VALU_DEP_1) | instskip(SKIP_2) | instid1(VALU_DEP_2)
	v_fma_f64 v[38:39], v[4:5], v[12:13], 1.0
	v_add_f64_e32 v[4:5], -1.0, v[6:7]
	v_add_f64_e32 v[6:7], v[2:3], v[2:3]
	v_fma_f64 v[0:1], -v[30:31], v[4:5], v[0:1]
	s_delay_alu instid0(VALU_DEP_2) | instskip(NEXT) | instid1(VALU_DEP_2)
	v_mul_f64_e32 v[2:3], v[2:3], v[6:7]
	v_add_f64_e64 v[0:1], v[0:1], -v[66:67]
	s_delay_alu instid0(VALU_DEP_2) | instskip(NEXT) | instid1(VALU_DEP_1)
	v_mul_f64_e32 v[2:3], v[4:5], v[2:3]
	v_mul_f64_e32 v[2:3], v[2:3], v[48:49]
	s_delay_alu instid0(VALU_DEP_1)
	v_fma_f64 v[40:41], v[0:1], v[12:13], -v[2:3]
	v_mul_f64_e32 v[2:3], v[20:21], v[20:21]
	v_cndmask_b32_e64 v1, v15, 0x3e45798e, s0
	v_cndmask_b32_e64 v0, v14, 0xe2308c3a, s0
	v_mul_f64_e32 v[20:21], v[44:45], v[16:17]
	s_mov_b32 s0, exec_lo
	s_delay_alu instid0(VALU_DEP_2) | instskip(SKIP_2) | instid1(VALU_DEP_4)
	v_mul_f64_e64 v[0:1], -v[0:1], v[46:47]
	v_mul_f64_e64 v[14:15], v[44:45], -v[40:41]
	v_div_scale_f64 v[4:5], null, v[2:3], v[2:3], v[34:35]
	v_fmac_f64_e32 v[124:125], 0x3fa405342ed5a580, v[20:21]
	s_delay_alu instid0(VALU_DEP_3) | instskip(NEXT) | instid1(VALU_DEP_3)
	v_fmac_f64_e32 v[114:115], 0x3fa405342ed5a580, v[14:15]
	v_rcp_f64_e32 v[6:7], v[4:5]
	v_nop
	s_delay_alu instid0(TRANS32_DEP_1) | instskip(NEXT) | instid1(VALU_DEP_1)
	v_fma_f64 v[10:11], -v[4:5], v[6:7], 1.0
	v_fmac_f64_e32 v[6:7], v[6:7], v[10:11]
	s_delay_alu instid0(VALU_DEP_1) | instskip(NEXT) | instid1(VALU_DEP_1)
	v_fma_f64 v[10:11], -v[4:5], v[6:7], 1.0
	v_fmac_f64_e32 v[6:7], v[6:7], v[10:11]
	v_div_scale_f64 v[10:11], vcc_lo, v[34:35], v[2:3], v[34:35]
	s_delay_alu instid0(VALU_DEP_1) | instskip(NEXT) | instid1(VALU_DEP_1)
	v_mul_f64_e32 v[12:13], v[10:11], v[6:7]
	v_fma_f64 v[4:5], -v[4:5], v[12:13], v[10:11]
	s_delay_alu instid0(VALU_DEP_1) | instskip(SKIP_1) | instid1(VALU_DEP_2)
	v_div_fmas_f64 v[4:5], v[4:5], v[6:7], v[12:13]
	v_mul_f64_e64 v[6:7], v[44:45], -v[38:39]
	v_div_fixup_f64 v[2:3], v[4:5], v[2:3], v[34:35]
	s_delay_alu instid0(VALU_DEP_2) | instskip(NEXT) | instid1(VALU_DEP_2)
	v_fmac_f64_e32 v[116:117], 0x3fa405342ed5a580, v[6:7]
	v_add_f64_e64 v[2:3], v[2:3], -v[8:9]
	s_delay_alu instid0(VALU_DEP_1) | instskip(SKIP_4) | instid1(VALU_DEP_2)
	v_mul_f64_e32 v[0:1], v[2:3], v[0:1]
	v_mul_f64_e32 v[2:3], v[44:45], v[22:23]
	scratch_load_b64 v[22:23], off, off offset:72 ; 8-byte Folded Reload
	v_mul_f64_e32 v[46:47], v[0:1], v[48:49]
	v_fmac_f64_e32 v[122:123], 0x3fa405342ed5a580, v[2:3]
	v_mul_f64_e32 v[16:17], v[44:45], v[46:47]
	s_delay_alu instid0(VALU_DEP_1) | instskip(SKIP_2) | instid1(VALU_DEP_1)
	v_fmac_f64_e32 v[110:111], 0x3fa405342ed5a580, v[16:17]
	s_wait_loadcnt 0x0
	v_div_scale_f64 v[0:1], null, v[22:23], v[22:23], v[24:25]
	v_rcp_f64_e32 v[4:5], v[0:1]
	v_nop
	s_delay_alu instid0(TRANS32_DEP_1) | instskip(NEXT) | instid1(VALU_DEP_1)
	v_fma_f64 v[10:11], -v[0:1], v[4:5], 1.0
	v_fmac_f64_e32 v[4:5], v[4:5], v[10:11]
	s_delay_alu instid0(VALU_DEP_1) | instskip(NEXT) | instid1(VALU_DEP_1)
	v_fma_f64 v[10:11], -v[0:1], v[4:5], 1.0
	v_fmac_f64_e32 v[4:5], v[4:5], v[10:11]
	v_div_scale_f64 v[10:11], vcc_lo, v[24:25], v[22:23], v[24:25]
	s_delay_alu instid0(VALU_DEP_1) | instskip(NEXT) | instid1(VALU_DEP_1)
	v_mul_f64_e32 v[12:13], v[10:11], v[4:5]
	v_fma_f64 v[0:1], -v[0:1], v[12:13], v[10:11]
	s_delay_alu instid0(VALU_DEP_1) | instskip(NEXT) | instid1(VALU_DEP_1)
	v_div_fmas_f64 v[0:1], v[0:1], v[4:5], v[12:13]
	v_div_fixup_f64 v[0:1], v[0:1], v[22:23], v[24:25]
	scratch_load_b64 v[24:25], off, off offset:80 ; 8-byte Folded Reload
	v_max_num_f64_e64 v[22:23], |v[0:1]|, 0
	s_wait_loadcnt 0x0
	v_div_scale_f64 v[0:1], null, v[24:25], v[24:25], v[124:125]
	s_delay_alu instid0(VALU_DEP_1) | instskip(SKIP_1) | instid1(TRANS32_DEP_1)
	v_rcp_f64_e32 v[4:5], v[0:1]
	v_nop
	v_fma_f64 v[10:11], -v[0:1], v[4:5], 1.0
	s_delay_alu instid0(VALU_DEP_1) | instskip(NEXT) | instid1(VALU_DEP_1)
	v_fmac_f64_e32 v[4:5], v[4:5], v[10:11]
	v_fma_f64 v[10:11], -v[0:1], v[4:5], 1.0
	s_delay_alu instid0(VALU_DEP_1) | instskip(SKIP_1) | instid1(VALU_DEP_1)
	v_fmac_f64_e32 v[4:5], v[4:5], v[10:11]
	v_div_scale_f64 v[10:11], vcc_lo, v[124:125], v[24:25], v[124:125]
	v_mul_f64_e32 v[12:13], v[10:11], v[4:5]
	s_delay_alu instid0(VALU_DEP_1) | instskip(NEXT) | instid1(VALU_DEP_1)
	v_fma_f64 v[0:1], -v[0:1], v[12:13], v[10:11]
	v_div_fmas_f64 v[0:1], v[0:1], v[4:5], v[12:13]
	s_delay_alu instid0(VALU_DEP_1) | instskip(SKIP_3) | instid1(VALU_DEP_1)
	v_div_fixup_f64 v[0:1], v[0:1], v[24:25], v[124:125]
	scratch_load_b64 v[24:25], off, off offset:88 ; 8-byte Folded Reload
	v_cmp_gt_f64_e64 vcc_lo, |v[0:1]|, v[22:23]
	v_and_b32_e32 v4, 0x7fffffff, v1
	v_cndmask_b32_e32 v1, v23, v4, vcc_lo
	v_cndmask_b32_e32 v0, v22, v0, vcc_lo
	s_wait_loadcnt 0x0
	v_div_scale_f64 v[4:5], null, v[24:25], v[24:25], v[122:123]
	s_delay_alu instid0(VALU_DEP_1) | instskip(SKIP_1) | instid1(TRANS32_DEP_1)
	v_rcp_f64_e32 v[10:11], v[4:5]
	v_nop
	v_fma_f64 v[12:13], -v[4:5], v[10:11], 1.0
	s_delay_alu instid0(VALU_DEP_1) | instskip(NEXT) | instid1(VALU_DEP_1)
	v_fmac_f64_e32 v[10:11], v[10:11], v[12:13]
	v_fma_f64 v[12:13], -v[4:5], v[10:11], 1.0
	s_delay_alu instid0(VALU_DEP_1) | instskip(SKIP_1) | instid1(VALU_DEP_1)
	v_fmac_f64_e32 v[10:11], v[10:11], v[12:13]
	v_div_scale_f64 v[12:13], vcc_lo, v[122:123], v[24:25], v[122:123]
	v_mul_f64_e32 v[22:23], v[12:13], v[10:11]
	s_delay_alu instid0(VALU_DEP_1) | instskip(NEXT) | instid1(VALU_DEP_1)
	v_fma_f64 v[4:5], -v[4:5], v[22:23], v[12:13]
	v_div_fmas_f64 v[4:5], v[4:5], v[10:11], v[22:23]
	s_delay_alu instid0(VALU_DEP_1) | instskip(SKIP_3) | instid1(VALU_DEP_1)
	v_div_fixup_f64 v[4:5], v[4:5], v[24:25], v[122:123]
	scratch_load_b64 v[24:25], off, off offset:96 ; 8-byte Folded Reload
	v_cmp_gt_f64_e64 vcc_lo, |v[4:5]|, v[0:1]
	v_and_b32_e32 v10, 0x7fffffff, v5
	v_dual_cndmask_b32 v23, v1, v10 :: v_dual_cndmask_b32 v22, v0, v4
	s_wait_loadcnt 0x0
	v_div_scale_f64 v[0:1], null, v[24:25], v[24:25], v[116:117]
	s_delay_alu instid0(VALU_DEP_1) | instskip(SKIP_1) | instid1(TRANS32_DEP_1)
	v_rcp_f64_e32 v[4:5], v[0:1]
	v_nop
	v_fma_f64 v[10:11], -v[0:1], v[4:5], 1.0
	s_delay_alu instid0(VALU_DEP_1) | instskip(NEXT) | instid1(VALU_DEP_1)
	v_fmac_f64_e32 v[4:5], v[4:5], v[10:11]
	v_fma_f64 v[10:11], -v[0:1], v[4:5], 1.0
	s_delay_alu instid0(VALU_DEP_1) | instskip(SKIP_1) | instid1(VALU_DEP_1)
	v_fmac_f64_e32 v[4:5], v[4:5], v[10:11]
	v_div_scale_f64 v[10:11], vcc_lo, v[116:117], v[24:25], v[116:117]
	v_mul_f64_e32 v[12:13], v[10:11], v[4:5]
	s_delay_alu instid0(VALU_DEP_1) | instskip(NEXT) | instid1(VALU_DEP_1)
	v_fma_f64 v[0:1], -v[0:1], v[12:13], v[10:11]
	v_div_fmas_f64 v[0:1], v[0:1], v[4:5], v[12:13]
	s_delay_alu instid0(VALU_DEP_1) | instskip(SKIP_3) | instid1(VALU_DEP_1)
	v_div_fixup_f64 v[0:1], v[0:1], v[24:25], v[116:117]
	scratch_load_b64 v[24:25], off, off offset:104 ; 8-byte Folded Reload
	v_cmp_gt_f64_e64 vcc_lo, |v[0:1]|, v[22:23]
	v_and_b32_e32 v4, 0x7fffffff, v1
	v_cndmask_b32_e32 v1, v23, v4, vcc_lo
	v_cndmask_b32_e32 v0, v22, v0, vcc_lo
	s_wait_loadcnt 0x0
	v_div_scale_f64 v[4:5], null, v[24:25], v[24:25], v[114:115]
	s_delay_alu instid0(VALU_DEP_1) | instskip(SKIP_1) | instid1(TRANS32_DEP_1)
	v_rcp_f64_e32 v[10:11], v[4:5]
	v_nop
	v_fma_f64 v[12:13], -v[4:5], v[10:11], 1.0
	s_delay_alu instid0(VALU_DEP_1) | instskip(NEXT) | instid1(VALU_DEP_1)
	v_fmac_f64_e32 v[10:11], v[10:11], v[12:13]
	v_fma_f64 v[12:13], -v[4:5], v[10:11], 1.0
	s_delay_alu instid0(VALU_DEP_1) | instskip(SKIP_1) | instid1(VALU_DEP_1)
	v_fmac_f64_e32 v[10:11], v[10:11], v[12:13]
	v_div_scale_f64 v[12:13], vcc_lo, v[114:115], v[24:25], v[114:115]
	v_mul_f64_e32 v[22:23], v[12:13], v[10:11]
	s_delay_alu instid0(VALU_DEP_1) | instskip(NEXT) | instid1(VALU_DEP_1)
	v_fma_f64 v[4:5], -v[4:5], v[22:23], v[12:13]
	v_div_fmas_f64 v[4:5], v[4:5], v[10:11], v[22:23]
	s_delay_alu instid0(VALU_DEP_1) | instskip(NEXT) | instid1(VALU_DEP_1)
	v_div_fixup_f64 v[4:5], v[4:5], v[24:25], v[114:115]
	v_cmp_gt_f64_e64 vcc_lo, |v[4:5]|, v[0:1]
	v_and_b32_e32 v10, 0x7fffffff, v5
	s_delay_alu instid0(VALU_DEP_1) | instskip(SKIP_4) | instid1(VALU_DEP_1)
	v_cndmask_b32_e32 v23, v1, v10, vcc_lo
	scratch_load_b64 v[10:11], off, off offset:112 ; 8-byte Folded Reload
	v_cndmask_b32_e32 v22, v0, v4, vcc_lo
	s_wait_loadcnt 0x0
	v_div_scale_f64 v[38:39], null, v[10:11], v[10:11], v[110:111]
	v_rcp_f64_e32 v[24:25], v[38:39]
	v_nop
	s_delay_alu instid0(TRANS32_DEP_1) | instskip(NEXT) | instid1(VALU_DEP_1)
	v_fma_f64 v[0:1], -v[38:39], v[24:25], 1.0
	v_fmac_f64_e32 v[24:25], v[24:25], v[0:1]
	s_delay_alu instid0(VALU_DEP_1) | instskip(NEXT) | instid1(VALU_DEP_1)
	v_fma_f64 v[0:1], -v[38:39], v[24:25], 1.0
	v_fmac_f64_e32 v[24:25], v[24:25], v[0:1]
	v_div_scale_f64 v[0:1], vcc_lo, v[110:111], v[10:11], v[110:111]
	s_delay_alu instid0(VALU_DEP_1) | instskip(NEXT) | instid1(VALU_DEP_1)
	v_mul_f64_e32 v[4:5], v[0:1], v[24:25]
	v_fma_f64 v[0:1], -v[38:39], v[4:5], v[0:1]
	s_delay_alu instid0(VALU_DEP_1) | instskip(NEXT) | instid1(VALU_DEP_1)
	v_div_fmas_f64 v[0:1], v[0:1], v[24:25], v[4:5]
	v_div_fixup_f64 v[0:1], v[0:1], v[10:11], v[110:111]
	s_delay_alu instid0(VALU_DEP_1) | instskip(SKIP_1) | instid1(VALU_DEP_1)
	v_cmp_gt_f64_e64 vcc_lo, |v[0:1]|, v[22:23]
	v_and_b32_e32 v4, 0x7fffffff, v1
	v_cndmask_b32_e32 v1, v23, v4, vcc_lo
	v_cndmask_b32_e32 v0, v22, v0, vcc_lo
                                        ; implicit-def: $vgpr22_vgpr23
	s_delay_alu instid0(VALU_DEP_1) | instskip(SKIP_1) | instid1(VALU_DEP_1)
	v_mul_f64_e32 v[24:25], 0x42d6bcc41e900000, v[0:1]
	s_wait_xcnt 0x0
	v_cmpx_nge_f64_e32 1.0, v[24:25]
	s_cbranch_execz .LBB0_89
; %bb.131:                              ;   in Loop: Header=BB0_90 Depth=2
	v_cmp_gt_f64_e32 vcc_lo, 0x10000000, v[24:25]
	s_mov_b32 s1, exec_lo
	v_cndmask_b32_e64 v0, 0, 0x100, vcc_lo
	s_delay_alu instid0(VALU_DEP_1) | instskip(NEXT) | instid1(VALU_DEP_1)
	v_ldexp_f64 v[0:1], v[24:25], v0
	v_rsq_f64_e32 v[4:5], v[0:1]
	v_nop
	s_delay_alu instid0(TRANS32_DEP_1) | instskip(SKIP_1) | instid1(VALU_DEP_1)
	v_mul_f64_e32 v[10:11], v[0:1], v[4:5]
	v_mul_f64_e32 v[4:5], 0.5, v[4:5]
	v_fma_f64 v[12:13], -v[4:5], v[10:11], 0.5
	s_delay_alu instid0(VALU_DEP_1) | instskip(SKIP_1) | instid1(VALU_DEP_2)
	v_fmac_f64_e32 v[10:11], v[10:11], v[12:13]
	v_fmac_f64_e32 v[4:5], v[4:5], v[12:13]
	v_fma_f64 v[12:13], -v[10:11], v[10:11], v[0:1]
	s_delay_alu instid0(VALU_DEP_1) | instskip(NEXT) | instid1(VALU_DEP_1)
	v_fmac_f64_e32 v[10:11], v[12:13], v[4:5]
	v_fma_f64 v[12:13], -v[10:11], v[10:11], v[0:1]
	s_delay_alu instid0(VALU_DEP_1) | instskip(SKIP_2) | instid1(VALU_DEP_2)
	v_fmac_f64_e32 v[10:11], v[12:13], v[4:5]
	v_cndmask_b32_e64 v4, 0, 0xffffff80, vcc_lo
	v_cmp_class_f64_e64 vcc_lo, v[0:1], 0x260
	v_ldexp_f64 v[4:5], v[10:11], v4
	s_delay_alu instid0(VALU_DEP_1) | instskip(NEXT) | instid1(VALU_DEP_1)
	v_dual_cndmask_b32 v1, v5, v1 :: v_dual_cndmask_b32 v0, v4, v0
	v_cmp_gt_f64_e32 vcc_lo, 0x10000000, v[0:1]
	s_delay_alu instid0(VALU_DEP_4) | instskip(NEXT) | instid1(VALU_DEP_1)
	v_cndmask_b32_e64 v4, 0, 0x100, vcc_lo
	v_ldexp_f64 v[0:1], v[0:1], v4
	s_delay_alu instid0(VALU_DEP_1) | instskip(SKIP_1) | instid1(TRANS32_DEP_1)
	v_rsq_f64_e32 v[4:5], v[0:1]
	v_nop
	v_mul_f64_e32 v[10:11], v[0:1], v[4:5]
	v_mul_f64_e32 v[4:5], 0.5, v[4:5]
	s_delay_alu instid0(VALU_DEP_1) | instskip(NEXT) | instid1(VALU_DEP_1)
	v_fma_f64 v[12:13], -v[4:5], v[10:11], 0.5
	v_fmac_f64_e32 v[10:11], v[10:11], v[12:13]
	v_fmac_f64_e32 v[4:5], v[4:5], v[12:13]
	s_delay_alu instid0(VALU_DEP_2) | instskip(NEXT) | instid1(VALU_DEP_1)
	v_fma_f64 v[12:13], -v[10:11], v[10:11], v[0:1]
	v_fmac_f64_e32 v[10:11], v[12:13], v[4:5]
	s_delay_alu instid0(VALU_DEP_1) | instskip(NEXT) | instid1(VALU_DEP_1)
	v_fma_f64 v[12:13], -v[10:11], v[10:11], v[0:1]
	v_fmac_f64_e32 v[10:11], v[12:13], v[4:5]
	v_cndmask_b32_e64 v4, 0, 0xffffff80, vcc_lo
	v_cmp_class_f64_e64 vcc_lo, v[0:1], 0x260
	s_delay_alu instid0(VALU_DEP_2) | instskip(SKIP_1) | instid1(VALU_DEP_2)
	v_ldexp_f64 v[4:5], v[10:11], v4
	v_mul_f64_e32 v[10:11], 0x3feccccccccccccd, v[44:45]
	v_dual_cndmask_b32 v1, v5, v1 :: v_dual_cndmask_b32 v0, v4, v0
	s_delay_alu instid0(VALU_DEP_1) | instskip(SKIP_1) | instid1(VALU_DEP_2)
	v_div_scale_f64 v[4:5], null, v[0:1], v[0:1], v[10:11]
	v_div_scale_f64 v[38:39], vcc_lo, v[10:11], v[0:1], v[10:11]
	v_rcp_f64_e32 v[12:13], v[4:5]
	v_nop
	s_delay_alu instid0(TRANS32_DEP_1) | instskip(NEXT) | instid1(VALU_DEP_1)
	v_fma_f64 v[22:23], -v[4:5], v[12:13], 1.0
	v_fmac_f64_e32 v[12:13], v[12:13], v[22:23]
	s_delay_alu instid0(VALU_DEP_1) | instskip(NEXT) | instid1(VALU_DEP_1)
	v_fma_f64 v[22:23], -v[4:5], v[12:13], 1.0
	v_fmac_f64_e32 v[12:13], v[12:13], v[22:23]
	s_delay_alu instid0(VALU_DEP_1) | instskip(NEXT) | instid1(VALU_DEP_1)
	v_mul_f64_e32 v[22:23], v[38:39], v[12:13]
	v_fma_f64 v[4:5], -v[4:5], v[22:23], v[38:39]
	s_delay_alu instid0(VALU_DEP_1) | instskip(SKIP_1) | instid1(VALU_DEP_2)
	v_div_fmas_f64 v[4:5], v[4:5], v[12:13], v[22:23]
	v_mul_f64_e32 v[22:23], 0x3fb999999999999a, v[44:45]
	v_div_fixup_f64 v[38:39], v[4:5], v[0:1], v[10:11]
	s_delay_alu instid0(VALU_DEP_2)
	v_cmpx_le_f64_e32 0, v[22:23]
	s_xor_b32 s1, exec_lo, s1
	s_cbranch_execz .LBB0_135
; %bb.132:                              ;   in Loop: Header=BB0_90 Depth=2
	s_mov_b32 s24, exec_lo
	s_delay_alu instid0(VALU_DEP_2)
	v_cmpx_gt_f64_e32 v[38:39], v[22:23]
	s_xor_b32 s24, exec_lo, s24
; %bb.133:                              ;   in Loop: Header=BB0_90 Depth=2
	v_mov_b64_e32 v[22:23], v[38:39]
; %bb.134:                              ;   in Loop: Header=BB0_90 Depth=2
	s_or_b32 exec_lo, exec_lo, s24
                                        ; implicit-def: $vgpr38_vgpr39
.LBB0_135:                              ;   in Loop: Header=BB0_90 Depth=2
	s_and_not1_saveexec_b32 s1, s1
	s_cbranch_execz .LBB0_88
; %bb.136:                              ;   in Loop: Header=BB0_90 Depth=2
	s_mov_b32 s24, exec_lo
	s_delay_alu instid0(VALU_DEP_1)
	v_cmpx_lt_f64_e32 v[38:39], v[22:23]
	s_xor_b32 s24, exec_lo, s24
	s_cbranch_execz .LBB0_87
; %bb.137:                              ;   in Loop: Header=BB0_90 Depth=2
	v_mov_b64_e32 v[22:23], v[38:39]
	s_branch .LBB0_87
.LBB0_138:                              ;   in Loop: Header=BB0_78 Depth=1
	s_or_b32 exec_lo, exec_lo, s2
	s_delay_alu instid0(SALU_CYCLE_1)
	s_mov_b32 s0, exec_lo
                                        ; implicit-def: $vgpr22_vgpr23
	v_cmpx_nlt_f64_e32 s[20:21], v[24:25]
	s_xor_b32 s0, exec_lo, s0
; %bb.139:                              ;   in Loop: Header=BB0_78 Depth=1
	v_mul_f64_e32 v[22:23], 0x40140000, v[44:45]
; %bb.140:                              ;   in Loop: Header=BB0_78 Depth=1
	s_and_not1_saveexec_b32 s2, s0
	s_cbranch_execz .LBB0_142
; %bb.141:                              ;   in Loop: Header=BB0_78 Depth=1
	v_frexp_mant_f64_e32 v[0:1], v[24:25]
	v_mov_b64_e32 v[52:53], v[36:37]
	v_mov_b64_e32 v[36:37], 0x3fba6564968915a9
	s_delay_alu instid0(VALU_DEP_3) | instskip(SKIP_1) | instid1(VALU_DEP_1)
	v_cmp_gt_f64_e32 vcc_lo, s[4:5], v[0:1]
	v_cndmask_b32_e64 v4, 0, 1, vcc_lo
	v_ldexp_f64 v[0:1], v[0:1], v4
	s_delay_alu instid0(VALU_DEP_1) | instskip(SKIP_1) | instid1(VALU_DEP_2)
	v_add_f64_e32 v[4:5], 1.0, v[0:1]
	v_add_f64_e32 v[22:23], -1.0, v[0:1]
	v_rcp_f64_e32 v[10:11], v[4:5]
	v_add_f64_e32 v[38:39], -1.0, v[4:5]
	s_delay_alu instid0(VALU_DEP_1) | instskip(NEXT) | instid1(TRANS32_DEP_1)
	v_add_f64_e64 v[0:1], v[0:1], -v[38:39]
	v_fma_f64 v[12:13], -v[4:5], v[10:11], 1.0
	s_delay_alu instid0(VALU_DEP_1) | instskip(NEXT) | instid1(VALU_DEP_1)
	v_fmac_f64_e32 v[10:11], v[12:13], v[10:11]
	v_fma_f64 v[12:13], -v[4:5], v[10:11], 1.0
	s_delay_alu instid0(VALU_DEP_1) | instskip(NEXT) | instid1(VALU_DEP_1)
	v_fmac_f64_e32 v[10:11], v[12:13], v[10:11]
	v_mul_f64_e32 v[12:13], v[22:23], v[10:11]
	s_delay_alu instid0(VALU_DEP_1) | instskip(NEXT) | instid1(VALU_DEP_1)
	v_mul_f64_e32 v[40:41], v[4:5], v[12:13]
	v_fma_f64 v[4:5], v[12:13], v[4:5], -v[40:41]
	s_delay_alu instid0(VALU_DEP_1) | instskip(NEXT) | instid1(VALU_DEP_1)
	v_fmac_f64_e32 v[4:5], v[12:13], v[0:1]
	v_add_f64_e32 v[0:1], v[40:41], v[4:5]
	s_delay_alu instid0(VALU_DEP_1) | instskip(SKIP_1) | instid1(VALU_DEP_2)
	v_add_f64_e64 v[38:39], v[22:23], -v[0:1]
	v_add_f64_e64 v[40:41], v[0:1], -v[40:41]
	;; [unrolled: 1-line block ×3, first 2 shown]
	s_delay_alu instid0(VALU_DEP_2) | instskip(NEXT) | instid1(VALU_DEP_2)
	v_add_f64_e64 v[4:5], v[40:41], -v[4:5]
	v_add_f64_e64 v[0:1], v[22:23], -v[0:1]
	s_delay_alu instid0(VALU_DEP_1) | instskip(NEXT) | instid1(VALU_DEP_1)
	v_add_f64_e32 v[0:1], v[4:5], v[0:1]
	v_add_f64_e32 v[0:1], v[38:39], v[0:1]
	s_delay_alu instid0(VALU_DEP_1) | instskip(NEXT) | instid1(VALU_DEP_1)
	v_mul_f64_e32 v[0:1], v[10:11], v[0:1]
	v_add_f64_e32 v[4:5], v[12:13], v[0:1]
	s_delay_alu instid0(VALU_DEP_1) | instskip(SKIP_1) | instid1(VALU_DEP_2)
	v_add_f64_e64 v[10:11], v[4:5], -v[12:13]
	v_mul_f64_e32 v[12:13], v[4:5], v[4:5]
	v_add_f64_e64 v[0:1], v[0:1], -v[10:11]
	s_delay_alu instid0(VALU_DEP_2) | instskip(NEXT) | instid1(VALU_DEP_2)
	v_fma_f64 v[10:11], v[4:5], v[4:5], -v[12:13]
	v_add_f64_e32 v[22:23], v[0:1], v[0:1]
	s_delay_alu instid0(VALU_DEP_1) | instskip(NEXT) | instid1(VALU_DEP_1)
	v_fmac_f64_e32 v[10:11], v[4:5], v[22:23]
	v_add_f64_e32 v[22:23], v[12:13], v[10:11]
	s_delay_alu instid0(VALU_DEP_1) | instskip(SKIP_3) | instid1(VALU_DEP_4)
	v_fmamk_f64 v[38:39], v[22:23], 0x3fbdee674222de17, v[36:37]
	v_add_f64_e64 v[12:13], v[22:23], -v[12:13]
	v_mul_f64_e32 v[48:49], v[4:5], v[22:23]
	v_mov_b64_e32 v[36:37], 0x3e928af3fca7ab0c
	v_fmaak_f64 v[38:39], v[22:23], v[38:39], 0x3fbe25e43abe935a
	s_delay_alu instid0(VALU_DEP_1) | instskip(NEXT) | instid1(VALU_DEP_1)
	v_fmaak_f64 v[38:39], v[22:23], v[38:39], 0x3fc110ef47e6c9c2
	v_fmaak_f64 v[38:39], v[22:23], v[38:39], 0x3fc3b13bcfa74449
	s_delay_alu instid0(VALU_DEP_1) | instskip(SKIP_1) | instid1(VALU_DEP_2)
	v_fmaak_f64 v[38:39], v[22:23], v[38:39], 0x3fc745d171bf3c30
	v_add_f64_e64 v[10:11], v[10:11], -v[12:13]
	v_fmaak_f64 v[38:39], v[22:23], v[38:39], 0x3fcc71c71c7792ce
	s_delay_alu instid0(VALU_DEP_1) | instskip(NEXT) | instid1(VALU_DEP_1)
	v_fmaak_f64 v[38:39], v[22:23], v[38:39], 0x3fd24924924920da
	v_fmaak_f64 v[38:39], v[22:23], v[38:39], 0x3fd999999999999c
	s_delay_alu instid0(VALU_DEP_1) | instskip(NEXT) | instid1(VALU_DEP_1)
	v_mul_f64_e32 v[40:41], v[22:23], v[38:39]
	v_fma_f64 v[12:13], v[22:23], v[38:39], -v[40:41]
	s_delay_alu instid0(VALU_DEP_1) | instskip(NEXT) | instid1(VALU_DEP_1)
	v_fmac_f64_e32 v[12:13], v[10:11], v[38:39]
	v_add_f64_e32 v[38:39], v[40:41], v[12:13]
	s_delay_alu instid0(VALU_DEP_1) | instskip(SKIP_1) | instid1(VALU_DEP_2)
	v_add_f64_e32 v[46:47], 0x3fe5555555555555, v[38:39]
	v_add_f64_e64 v[40:41], v[38:39], -v[40:41]
	v_add_f64_e32 v[50:51], 0xbfe5555555555555, v[46:47]
	s_delay_alu instid0(VALU_DEP_2) | instskip(SKIP_1) | instid1(VALU_DEP_3)
	v_add_f64_e64 v[12:13], v[12:13], -v[40:41]
	v_fma_f64 v[40:41], v[22:23], v[4:5], -v[48:49]
	v_add_f64_e64 v[38:39], v[38:39], -v[50:51]
	s_delay_alu instid0(VALU_DEP_3) | instskip(NEXT) | instid1(VALU_DEP_3)
	v_add_f64_e32 v[12:13], 0x3c8543b0d5df274d, v[12:13]
	v_fmac_f64_e32 v[40:41], v[22:23], v[0:1]
	v_ldexp_f64 v[0:1], v[0:1], 1
	s_delay_alu instid0(VALU_DEP_3) | instskip(NEXT) | instid1(VALU_DEP_3)
	v_add_f64_e32 v[12:13], v[12:13], v[38:39]
	v_fmac_f64_e32 v[40:41], v[10:11], v[4:5]
	v_ldexp_f64 v[4:5], v[4:5], 1
	s_delay_alu instid0(VALU_DEP_3) | instskip(NEXT) | instid1(VALU_DEP_3)
	v_add_f64_e32 v[10:11], v[46:47], v[12:13]
	v_add_f64_e32 v[22:23], v[48:49], v[40:41]
	s_delay_alu instid0(VALU_DEP_2) | instskip(NEXT) | instid1(VALU_DEP_2)
	v_add_f64_e64 v[38:39], v[46:47], -v[10:11]
	v_mul_f64_e32 v[46:47], v[22:23], v[10:11]
	v_add_f64_e64 v[48:49], v[22:23], -v[48:49]
	s_delay_alu instid0(VALU_DEP_3) | instskip(NEXT) | instid1(VALU_DEP_3)
	v_add_f64_e32 v[12:13], v[12:13], v[38:39]
	v_fma_f64 v[38:39], v[22:23], v[10:11], -v[46:47]
	s_delay_alu instid0(VALU_DEP_3) | instskip(NEXT) | instid1(VALU_DEP_2)
	v_add_f64_e64 v[40:41], v[40:41], -v[48:49]
	v_fmac_f64_e32 v[38:39], v[22:23], v[12:13]
	v_frexp_exp_i32_f64_e32 v12, v[24:25]
	s_delay_alu instid0(VALU_DEP_2) | instskip(NEXT) | instid1(VALU_DEP_2)
	v_fmac_f64_e32 v[38:39], v[40:41], v[10:11]
	v_subrev_co_ci_u32_e64 v12, null, 0, v12, vcc_lo
	v_cmp_eq_f64_e32 vcc_lo, 1.0, v[24:25]
	s_delay_alu instid0(VALU_DEP_2) | instskip(NEXT) | instid1(VALU_DEP_4)
	v_cvt_f64_i32_e32 v[12:13], v12
	v_add_f64_e32 v[10:11], v[46:47], v[38:39]
	s_delay_alu instid0(VALU_DEP_1) | instskip(SKIP_1) | instid1(VALU_DEP_4)
	v_add_f64_e32 v[22:23], v[4:5], v[10:11]
	v_add_f64_e64 v[40:41], v[10:11], -v[46:47]
	v_mul_f64_e32 v[46:47], 0x3fe62e42fefa39ef, v[12:13]
	s_delay_alu instid0(VALU_DEP_3) | instskip(NEXT) | instid1(VALU_DEP_3)
	v_add_f64_e64 v[4:5], v[22:23], -v[4:5]
	v_add_f64_e64 v[38:39], v[38:39], -v[40:41]
	s_delay_alu instid0(VALU_DEP_3) | instskip(NEXT) | instid1(VALU_DEP_3)
	v_fma_f64 v[40:41], v[12:13], s[6:7], -v[46:47]
	v_add_f64_e64 v[4:5], v[10:11], -v[4:5]
	s_delay_alu instid0(VALU_DEP_3) | instskip(NEXT) | instid1(VALU_DEP_3)
	v_add_f64_e32 v[0:1], v[0:1], v[38:39]
	v_fmac_f64_e32 v[40:41], 0x3c7abc9e3b39803f, v[12:13]
	s_delay_alu instid0(VALU_DEP_2) | instskip(NEXT) | instid1(VALU_DEP_2)
	v_add_f64_e32 v[0:1], v[0:1], v[4:5]
	v_add_f64_e32 v[4:5], v[46:47], v[40:41]
	s_delay_alu instid0(VALU_DEP_2) | instskip(NEXT) | instid1(VALU_DEP_2)
	v_add_f64_e32 v[10:11], v[22:23], v[0:1]
	v_add_f64_e64 v[46:47], v[4:5], -v[46:47]
	s_delay_alu instid0(VALU_DEP_2) | instskip(SKIP_1) | instid1(VALU_DEP_3)
	v_add_f64_e32 v[12:13], v[4:5], v[10:11]
	v_add_f64_e64 v[22:23], v[10:11], -v[22:23]
	v_add_f64_e64 v[40:41], v[40:41], -v[46:47]
	s_delay_alu instid0(VALU_DEP_3) | instskip(NEXT) | instid1(VALU_DEP_3)
	v_add_f64_e64 v[38:39], v[12:13], -v[4:5]
	v_add_f64_e64 v[0:1], v[0:1], -v[22:23]
	s_delay_alu instid0(VALU_DEP_2) | instskip(SKIP_1) | instid1(VALU_DEP_3)
	v_add_f64_e64 v[48:49], v[12:13], -v[38:39]
	v_add_f64_e64 v[10:11], v[10:11], -v[38:39]
	v_add_f64_e32 v[22:23], v[40:41], v[0:1]
	s_delay_alu instid0(VALU_DEP_3) | instskip(NEXT) | instid1(VALU_DEP_1)
	v_add_f64_e64 v[4:5], v[4:5], -v[48:49]
	v_add_f64_e32 v[4:5], v[10:11], v[4:5]
	s_delay_alu instid0(VALU_DEP_3) | instskip(NEXT) | instid1(VALU_DEP_2)
	v_add_f64_e64 v[10:11], v[22:23], -v[40:41]
	v_add_f64_e32 v[4:5], v[22:23], v[4:5]
	s_delay_alu instid0(VALU_DEP_2) | instskip(SKIP_1) | instid1(VALU_DEP_3)
	v_add_f64_e64 v[22:23], v[22:23], -v[10:11]
	v_add_f64_e64 v[0:1], v[0:1], -v[10:11]
	v_add_f64_e32 v[38:39], v[12:13], v[4:5]
	s_delay_alu instid0(VALU_DEP_3) | instskip(NEXT) | instid1(VALU_DEP_2)
	v_add_f64_e64 v[10:11], v[40:41], -v[22:23]
	v_add_f64_e64 v[12:13], v[38:39], -v[12:13]
	s_delay_alu instid0(VALU_DEP_2) | instskip(SKIP_1) | instid1(VALU_DEP_1)
	v_add_f64_e32 v[0:1], v[0:1], v[10:11]
	v_mov_b32_e32 v10, 0x3ff00000
	v_cndmask_b32_e32 v11, 0xbfc99999, v10, vcc_lo
	v_cndmask_b32_e64 v10, 0x9999999a, 0, vcc_lo
	v_add_f64_e64 v[4:5], v[4:5], -v[12:13]
	s_delay_alu instid0(VALU_DEP_1) | instskip(NEXT) | instid1(VALU_DEP_1)
	v_add_f64_e32 v[0:1], v[0:1], v[4:5]
	v_add_f64_e32 v[4:5], v[38:39], v[0:1]
	s_delay_alu instid0(VALU_DEP_1) | instskip(SKIP_1) | instid1(VALU_DEP_2)
	v_add_f64_e64 v[12:13], v[4:5], -v[38:39]
	v_mul_f64_e32 v[22:23], v[10:11], v[4:5]
	v_add_f64_e64 v[0:1], v[0:1], -v[12:13]
	s_delay_alu instid0(VALU_DEP_2) | instskip(SKIP_1) | instid1(VALU_DEP_2)
	v_fma_f64 v[4:5], v[10:11], v[4:5], -v[22:23]
	v_cmp_class_f64_e64 vcc_lo, v[22:23], 0x204
	v_fmac_f64_e32 v[4:5], v[10:11], v[0:1]
	s_delay_alu instid0(VALU_DEP_1) | instskip(NEXT) | instid1(VALU_DEP_1)
	v_add_f64_e32 v[0:1], v[22:23], v[4:5]
	v_dual_cndmask_b32 v11, v1, v23 :: v_dual_cndmask_b32 v10, v0, v22
	v_add_f64_e64 v[0:1], v[0:1], -v[22:23]
	s_delay_alu instid0(VALU_DEP_2)
	v_mul_f64_e32 v[12:13], 0x3ff71547652b82fe, v[10:11]
	v_cmp_nlt_f64_e64 s0, 0x40900000, v[10:11]
	v_cmp_neq_f64_e64 vcc_lo, 0x7ff00000, |v[10:11]|
	v_cmp_ngt_f64_e64 s1, 0xc090cc00, v[10:11]
	v_add_f64_e64 v[0:1], v[4:5], -v[0:1]
	v_rndne_f64_e32 v[12:13], v[12:13]
	s_delay_alu instid0(VALU_DEP_2) | instskip(SKIP_1) | instid1(VALU_DEP_2)
	v_dual_cndmask_b32 v1, 0, v1 :: v_dual_cndmask_b32 v0, 0, v0
	s_and_b32 vcc_lo, s1, s0
	v_fmamk_f64 v[24:25], v[12:13], 0xbfe62e42fefa39ef, v[10:11]
	v_cvt_i32_f64_e32 v27, v[12:13]
	v_mul_f64_e32 v[10:11], 0x3feccccccccccccd, v[44:45]
	s_delay_alu instid0(VALU_DEP_3) | instskip(NEXT) | instid1(VALU_DEP_1)
	v_fmac_f64_e32 v[24:25], 0xbc7abc9e3b39803f, v[12:13]
	v_fmamk_f64 v[38:39], v[24:25], 0x3e5ade156a5dcb37, v[36:37]
	v_mov_b64_e32 v[36:37], v[52:53]
	s_delay_alu instid0(VALU_DEP_2) | instskip(NEXT) | instid1(VALU_DEP_1)
	v_fmaak_f64 v[38:39], v[24:25], v[38:39], 0x3ec71dee623fde64
	v_fmaak_f64 v[38:39], v[24:25], v[38:39], 0x3efa01997c89e6b0
	s_delay_alu instid0(VALU_DEP_1) | instskip(NEXT) | instid1(VALU_DEP_1)
	v_fmaak_f64 v[38:39], v[24:25], v[38:39], 0x3f2a01a014761f6e
	v_fmaak_f64 v[38:39], v[24:25], v[38:39], 0x3f56c16c1852b7b0
	s_delay_alu instid0(VALU_DEP_1) | instskip(NEXT) | instid1(VALU_DEP_1)
	;; [unrolled: 3-line block ×4, first 2 shown]
	v_fma_f64 v[38:39], v[24:25], v[38:39], 1.0
	v_fma_f64 v[12:13], v[24:25], v[38:39], 1.0
	s_delay_alu instid0(VALU_DEP_1) | instskip(NEXT) | instid1(VALU_DEP_1)
	v_ldexp_f64 v[12:13], v[12:13], v27
	v_cndmask_b32_e64 v4, 0x7ff00000, v13, s0
	s_delay_alu instid0(VALU_DEP_1) | instskip(NEXT) | instid1(VALU_DEP_3)
	v_cndmask_b32_e64 v5, 0, v4, s1
	v_cndmask_b32_e32 v4, 0, v12, vcc_lo
	s_delay_alu instid0(VALU_DEP_1) | instskip(SKIP_1) | instid1(VALU_DEP_2)
	v_fma_f64 v[0:1], v[4:5], v[0:1], v[4:5]
	v_cmp_class_f64_e64 vcc_lo, v[4:5], 0x204
	v_dual_cndmask_b32 v1, v1, v5 :: v_dual_cndmask_b32 v0, v0, v4
	s_delay_alu instid0(VALU_DEP_1)
	v_mul_f64_e64 v[22:23], v[10:11], |v[0:1]|
.LBB0_142:                              ;   in Loop: Header=BB0_78 Depth=1
	s_or_b32 exec_lo, exec_lo, s2
	s_clause 0x1
	scratch_load_b64 v[30:31], off, off
	scratch_load_b64 v[0:1], off, off offset:144
	v_fmac_f64_e32 v[36:37], 0x3fb90ee643b990ee, v[70:71]
	s_delay_alu instid0(VALU_DEP_1) | instskip(NEXT) | instid1(VALU_DEP_1)
	v_fmac_f64_e32 v[36:37], 0x3fd9c3d02e2bb280, v[78:79]
	v_fmac_f64_e32 v[36:37], 0x3fcaef9f76166929, v[86:87]
	s_delay_alu instid0(VALU_DEP_1) | instskip(NEXT) | instid1(VALU_DEP_1)
	v_fmac_f64_e32 v[36:37], 0x3fd280a685dab4b0, v[18:19]
	v_cmp_gt_f64_e32 vcc_lo, 0x40490000, v[36:37]
	s_wait_loadcnt 0x1
	v_fmamk_f64 v[24:25], v[42:43], 0x3fb90ee643b990ee, v[30:31]
	s_wait_loadcnt 0x0
	v_cmp_gt_f64_e64 s0, v[36:37], v[0:1]
	s_delay_alu instid0(VALU_DEP_2) | instskip(SKIP_1) | instid1(SALU_CYCLE_1)
	v_fmac_f64_e32 v[24:25], 0x3fd9c3d02e2bb280, v[74:75]
	s_and_b32 s2, vcc_lo, s0
	s_xor_b32 s1, s2, -1
	s_delay_alu instid0(VALU_DEP_1) | instskip(NEXT) | instid1(VALU_DEP_1)
	v_fmac_f64_e32 v[24:25], 0x3fcaef9f76166929, v[80:81]
	v_fmac_f64_e32 v[24:25], 0x3fd280a685dab4b0, v[20:21]
	s_wait_xcnt 0x0
	s_and_saveexec_b32 s0, s2
	s_cbranch_execz .LBB0_144
; %bb.143:                              ;   in Loop: Header=BB0_78 Depth=1
	v_add_f64_e32 v[0:1], 0xbff921fb53c8d4f1, v[30:31]
	s_delay_alu instid0(VALU_DEP_2) | instskip(SKIP_1) | instid1(VALU_DEP_1)
	v_add_f64_e32 v[4:5], 0xbff921fb53c8d4f1, v[24:25]
	s_and_not1_b32 s1, s1, exec_lo
	v_mul_f64_e32 v[0:1], v[4:5], v[0:1]
	s_delay_alu instid0(VALU_DEP_1) | instskip(SKIP_1) | instid1(SALU_CYCLE_1)
	v_cmp_ngt_f64_e32 vcc_lo, 0, v[0:1]
	s_and_b32 s2, vcc_lo, exec_lo
	s_or_b32 s1, s1, s2
.LBB0_144:                              ;   in Loop: Header=BB0_78 Depth=1
	s_or_b32 exec_lo, exec_lo, s0
	s_mov_b32 s0, -1
	s_or_b32 s3, s3, exec_lo
	s_and_saveexec_b32 s2, s1
	s_cbranch_execz .LBB0_77
; %bb.145:                              ;   in Loop: Header=BB0_78 Depth=1
	scratch_load_b64 v[0:1], off, off offset:16 th:TH_LOAD_LU ; 8-byte Folded Reload
	v_cmp_lt_f64_e32 vcc_lo, 0x408f4000, v[36:37]
	s_and_not1_b32 s3, s3, exec_lo
	s_wait_loadcnt 0x0
	v_cmp_lt_f64_e64 s0, 0, v[0:1]
	scratch_load_b64 v[0:1], off, off offset:152 ; 8-byte Folded Reload
	s_and_b32 s0, vcc_lo, s0
	s_wait_loadcnt 0x0
	v_cmp_lt_f64_e64 s1, v[36:37], v[0:1]
	s_or_b32 s0, s1, s0
	s_delay_alu instid0(SALU_CYCLE_1)
	s_or_not1_b32 s0, s0, exec_lo
	s_branch .LBB0_77
.LBB0_146:
	s_or_b32 exec_lo, exec_lo, s22
	s_and_saveexec_b32 s0, s23
	s_delay_alu instid0(SALU_CYCLE_1)
	s_xor_b32 s0, exec_lo, s0
	s_cbranch_execz .LBB0_148
; %bb.147:
	v_cmp_gt_f64_e32 vcc_lo, 0x10000000, v[36:37]
	v_cndmask_b32_e64 v0, 0, 0x100, vcc_lo
	s_delay_alu instid0(VALU_DEP_1) | instskip(NEXT) | instid1(VALU_DEP_1)
	v_ldexp_f64 v[0:1], v[36:37], v0
	v_rsq_f64_e32 v[2:3], v[0:1]
	v_nop
	s_delay_alu instid0(TRANS32_DEP_1) | instskip(SKIP_1) | instid1(VALU_DEP_1)
	v_mul_f64_e32 v[4:5], v[0:1], v[2:3]
	v_mul_f64_e32 v[2:3], 0.5, v[2:3]
	v_fma_f64 v[6:7], -v[2:3], v[4:5], 0.5
	s_delay_alu instid0(VALU_DEP_1) | instskip(SKIP_1) | instid1(VALU_DEP_2)
	v_fmac_f64_e32 v[4:5], v[4:5], v[6:7]
	v_fmac_f64_e32 v[2:3], v[2:3], v[6:7]
	v_fma_f64 v[6:7], -v[4:5], v[4:5], v[0:1]
	s_delay_alu instid0(VALU_DEP_1) | instskip(NEXT) | instid1(VALU_DEP_1)
	v_fmac_f64_e32 v[4:5], v[6:7], v[2:3]
	v_fma_f64 v[6:7], -v[4:5], v[4:5], v[0:1]
	s_delay_alu instid0(VALU_DEP_1) | instskip(SKIP_3) | instid1(VALU_DEP_3)
	v_fmac_f64_e32 v[4:5], v[6:7], v[2:3]
	v_cndmask_b32_e64 v6, 0, 0xffffff80, vcc_lo
	v_cmp_class_f64_e64 vcc_lo, v[0:1], 0x260
	v_mul_f64_e32 v[2:3], v[36:37], v[36:37]
	v_ldexp_f64 v[4:5], v[4:5], v6
	s_delay_alu instid0(VALU_DEP_2) | instskip(NEXT) | instid1(VALU_DEP_2)
	v_fmamk_f64 v[6:7], v[36:37], 0xc0080000, v[2:3]
	v_dual_cndmask_b32 v1, v5, v1 :: v_dual_cndmask_b32 v0, v4, v0
	scratch_load_b64 v[4:5], off, off offset:160 th:TH_LOAD_LU ; 8-byte Folded Reload
	s_wait_loadcnt 0x0
	v_fmac_f64_e32 v[6:7], v[4:5], v[0:1]
	s_delay_alu instid0(VALU_DEP_1) | instskip(SKIP_1) | instid1(VALU_DEP_1)
	v_cmp_gt_f64_e32 vcc_lo, 0x10000000, v[6:7]
	v_cndmask_b32_e64 v4, 0, 0x100, vcc_lo
	v_ldexp_f64 v[4:5], v[6:7], v4
	s_delay_alu instid0(VALU_DEP_1) | instskip(SKIP_1) | instid1(TRANS32_DEP_1)
	v_rsq_f64_e32 v[6:7], v[4:5]
	v_cmp_class_f64_e64 s1, v[4:5], 0x260
	v_mul_f64_e32 v[12:13], v[4:5], v[6:7]
	v_mul_f64_e32 v[6:7], 0.5, v[6:7]
	v_div_scale_f64 v[8:9], null, v[0:1], v[0:1], v[32:33]
	s_delay_alu instid0(VALU_DEP_2) | instskip(NEXT) | instid1(VALU_DEP_2)
	v_fma_f64 v[14:15], -v[6:7], v[12:13], 0.5
	v_rcp_f64_e32 v[10:11], v[8:9]
	s_delay_alu instid0(VALU_DEP_1) | instskip(SKIP_1) | instid1(TRANS32_DEP_1)
	v_fmac_f64_e32 v[12:13], v[12:13], v[14:15]
	v_fmac_f64_e32 v[6:7], v[6:7], v[14:15]
	v_fma_f64 v[16:17], -v[8:9], v[10:11], 1.0
	s_delay_alu instid0(VALU_DEP_3) | instskip(NEXT) | instid1(VALU_DEP_2)
	v_fma_f64 v[14:15], -v[12:13], v[12:13], v[4:5]
	v_fmac_f64_e32 v[10:11], v[10:11], v[16:17]
	s_delay_alu instid0(VALU_DEP_2) | instskip(SKIP_1) | instid1(VALU_DEP_3)
	v_fmac_f64_e32 v[12:13], v[14:15], v[6:7]
	v_div_scale_f64 v[14:15], s0, v[32:33], v[0:1], v[32:33]
	v_fma_f64 v[16:17], -v[8:9], v[10:11], 1.0
	s_delay_alu instid0(VALU_DEP_1) | instskip(NEXT) | instid1(VALU_DEP_4)
	v_fmac_f64_e32 v[10:11], v[10:11], v[16:17]
	v_fma_f64 v[16:17], -v[12:13], v[12:13], v[4:5]
	s_delay_alu instid0(VALU_DEP_2) | instskip(NEXT) | instid1(VALU_DEP_2)
	v_mul_f64_e32 v[18:19], v[14:15], v[10:11]
	v_fmac_f64_e32 v[12:13], v[16:17], v[6:7]
	s_delay_alu instid0(VALU_DEP_2) | instskip(SKIP_2) | instid1(VALU_DEP_1)
	v_fma_f64 v[6:7], -v[8:9], v[18:19], v[14:15]
	v_cndmask_b32_e64 v8, 0, 0xffffff80, vcc_lo
	s_mov_b32 vcc_lo, s0
	v_ldexp_f64 v[8:9], v[12:13], v8
	s_delay_alu instid0(VALU_DEP_1) | instskip(NEXT) | instid1(VALU_DEP_4)
	v_cndmask_b32_e64 v5, v9, v5, s1
	v_div_fmas_f64 v[6:7], v[6:7], v[10:11], v[18:19]
	s_delay_alu instid0(VALU_DEP_3) | instskip(NEXT) | instid1(VALU_DEP_2)
	v_cndmask_b32_e64 v4, v8, v4, s1
	v_div_fixup_f64 v[6:7], v[6:7], v[0:1], v[32:33]
	v_fma_f64 v[0:1], s[8:9], v[0:1], v[2:3]
	s_delay_alu instid0(VALU_DEP_3) | instskip(NEXT) | instid1(VALU_DEP_3)
	v_mul_f64_e32 v[2:3], v[36:37], v[4:5]
	v_div_scale_f64 v[8:9], null, v[4:5], v[4:5], v[6:7]
	s_delay_alu instid0(VALU_DEP_2) | instskip(NEXT) | instid1(VALU_DEP_2)
	v_div_scale_f64 v[10:11], null, v[2:3], v[2:3], v[0:1]
	v_rcp_f64_e32 v[12:13], v[8:9]
	s_delay_alu instid0(VALU_DEP_1) | instskip(NEXT) | instid1(TRANS32_DEP_2)
	v_rcp_f64_e32 v[14:15], v[10:11]
	v_fma_f64 v[16:17], -v[8:9], v[12:13], 1.0
	s_delay_alu instid0(TRANS32_DEP_1) | instskip(NEXT) | instid1(VALU_DEP_2)
	v_fma_f64 v[18:19], -v[10:11], v[14:15], 1.0
	v_fmac_f64_e32 v[12:13], v[12:13], v[16:17]
	s_delay_alu instid0(VALU_DEP_2) | instskip(NEXT) | instid1(VALU_DEP_2)
	v_fmac_f64_e32 v[14:15], v[14:15], v[18:19]
	v_fma_f64 v[16:17], -v[8:9], v[12:13], 1.0
	s_delay_alu instid0(VALU_DEP_2) | instskip(NEXT) | instid1(VALU_DEP_2)
	v_fma_f64 v[18:19], -v[10:11], v[14:15], 1.0
	v_fmac_f64_e32 v[12:13], v[12:13], v[16:17]
	v_div_scale_f64 v[16:17], s0, v[0:1], v[2:3], v[0:1]
	s_delay_alu instid0(VALU_DEP_3) | instskip(NEXT) | instid1(VALU_DEP_1)
	v_fmac_f64_e32 v[14:15], v[14:15], v[18:19]
	v_mul_f64_e32 v[22:23], v[16:17], v[14:15]
	s_delay_alu instid0(VALU_DEP_1) | instskip(SKIP_1) | instid1(VALU_DEP_1)
	v_fma_f64 v[10:11], -v[10:11], v[22:23], v[16:17]
	v_div_scale_f64 v[20:21], vcc_lo, v[6:7], v[4:5], v[6:7]
	v_mul_f64_e32 v[18:19], v[20:21], v[12:13]
	s_delay_alu instid0(VALU_DEP_1) | instskip(NEXT) | instid1(VALU_DEP_1)
	v_fma_f64 v[8:9], -v[8:9], v[18:19], v[20:21]
	v_div_fmas_f64 v[8:9], v[8:9], v[12:13], v[18:19]
	s_mov_b32 vcc_lo, s0
	v_div_fmas_f64 v[10:11], v[10:11], v[14:15], v[22:23]
	s_delay_alu instid0(VALU_DEP_2) | instskip(NEXT) | instid1(VALU_DEP_2)
	v_div_fixup_f64 v[4:5], v[8:9], v[4:5], v[6:7]
	v_div_fixup_f64 v[0:1], v[10:11], v[2:3], v[0:1]
	s_delay_alu instid0(VALU_DEP_1) | instskip(NEXT) | instid1(VALU_DEP_1)
	v_add_f64_e64 v[0:1], v[4:5], -v[0:1]
	v_div_scale_f64 v[2:3], null, v[0:1], v[0:1], -1.0
	s_delay_alu instid0(VALU_DEP_1) | instskip(SKIP_1) | instid1(TRANS32_DEP_1)
	v_rcp_f64_e32 v[4:5], v[2:3]
	v_nop
	v_fma_f64 v[6:7], -v[2:3], v[4:5], 1.0
	s_delay_alu instid0(VALU_DEP_1) | instskip(NEXT) | instid1(VALU_DEP_1)
	v_fmac_f64_e32 v[4:5], v[4:5], v[6:7]
	v_fma_f64 v[6:7], -v[2:3], v[4:5], 1.0
	s_delay_alu instid0(VALU_DEP_1) | instskip(SKIP_1) | instid1(VALU_DEP_1)
	v_fmac_f64_e32 v[4:5], v[4:5], v[6:7]
	v_div_scale_f64 v[6:7], vcc_lo, -1.0, v[0:1], -1.0
	v_mul_f64_e32 v[8:9], v[6:7], v[4:5]
	s_delay_alu instid0(VALU_DEP_1) | instskip(NEXT) | instid1(VALU_DEP_1)
	v_fma_f64 v[2:3], -v[2:3], v[8:9], v[6:7]
	v_div_fmas_f64 v[2:3], v[2:3], v[4:5], v[8:9]
	s_delay_alu instid0(VALU_DEP_1)
	v_div_fixup_f64 v[0:1], v[2:3], v[0:1], -1.0
	scratch_load_b64 v[2:3], off, off offset:168 th:TH_LOAD_LU ; 8-byte Folded Reload
	s_wait_loadcnt 0x0
	global_store_b64 v[2:3], v[0:1], off
.LBB0_148:
	s_sendmsg sendmsg(MSG_DEALLOC_VGPRS)
	s_endpgm
	.section	.rodata,"a",@progbits
	.p2align	6, 0x0
	.amdhsa_kernel _Z5task1PdS_ii
		.amdhsa_group_segment_fixed_size 0
		.amdhsa_private_segment_fixed_size 180
		.amdhsa_kernarg_size 280
		.amdhsa_user_sgpr_count 2
		.amdhsa_user_sgpr_dispatch_ptr 0
		.amdhsa_user_sgpr_queue_ptr 0
		.amdhsa_user_sgpr_kernarg_segment_ptr 1
		.amdhsa_user_sgpr_dispatch_id 0
		.amdhsa_user_sgpr_kernarg_preload_length 0
		.amdhsa_user_sgpr_kernarg_preload_offset 0
		.amdhsa_user_sgpr_private_segment_size 0
		.amdhsa_wavefront_size32 1
		.amdhsa_uses_dynamic_stack 0
		.amdhsa_enable_private_segment 1
		.amdhsa_system_sgpr_workgroup_id_x 1
		.amdhsa_system_sgpr_workgroup_id_y 1
		.amdhsa_system_sgpr_workgroup_id_z 0
		.amdhsa_system_sgpr_workgroup_info 0
		.amdhsa_system_vgpr_workitem_id 1
		.amdhsa_next_free_vgpr 128
		.amdhsa_next_free_sgpr 25
		.amdhsa_named_barrier_count 0
		.amdhsa_reserve_vcc 1
		.amdhsa_float_round_mode_32 0
		.amdhsa_float_round_mode_16_64 0
		.amdhsa_float_denorm_mode_32 3
		.amdhsa_float_denorm_mode_16_64 3
		.amdhsa_fp16_overflow 0
		.amdhsa_memory_ordered 1
		.amdhsa_forward_progress 1
		.amdhsa_inst_pref_size 255
		.amdhsa_round_robin_scheduling 0
		.amdhsa_exception_fp_ieee_invalid_op 0
		.amdhsa_exception_fp_denorm_src 0
		.amdhsa_exception_fp_ieee_div_zero 0
		.amdhsa_exception_fp_ieee_overflow 0
		.amdhsa_exception_fp_ieee_underflow 0
		.amdhsa_exception_fp_ieee_inexact 0
		.amdhsa_exception_int_div_zero 0
	.end_amdhsa_kernel
	.text
.Lfunc_end0:
	.size	_Z5task1PdS_ii, .Lfunc_end0-_Z5task1PdS_ii
                                        ; -- End function
	.set _Z5task1PdS_ii.num_vgpr, 128
	.set _Z5task1PdS_ii.num_agpr, 0
	.set _Z5task1PdS_ii.numbered_sgpr, 25
	.set _Z5task1PdS_ii.num_named_barrier, 0
	.set _Z5task1PdS_ii.private_seg_size, 180
	.set _Z5task1PdS_ii.uses_vcc, 1
	.set _Z5task1PdS_ii.uses_flat_scratch, 1
	.set _Z5task1PdS_ii.has_dyn_sized_stack, 0
	.set _Z5task1PdS_ii.has_recursion, 0
	.set _Z5task1PdS_ii.has_indirect_call, 0
	.section	.AMDGPU.csdata,"",@progbits
; Kernel info:
; codeLenInByte = 52368
; TotalNumSgprs: 27
; NumVgprs: 128
; ScratchSize: 180
; MemoryBound: 1
; FloatMode: 240
; IeeeMode: 1
; LDSByteSize: 0 bytes/workgroup (compile time only)
; SGPRBlocks: 0
; VGPRBlocks: 7
; NumSGPRsForWavesPerEU: 27
; NumVGPRsForWavesPerEU: 128
; NamedBarCnt: 0
; Occupancy: 8
; WaveLimiterHint : 0
; COMPUTE_PGM_RSRC2:SCRATCH_EN: 1
; COMPUTE_PGM_RSRC2:USER_SGPR: 2
; COMPUTE_PGM_RSRC2:TRAP_HANDLER: 0
; COMPUTE_PGM_RSRC2:TGID_X_EN: 1
; COMPUTE_PGM_RSRC2:TGID_Y_EN: 1
; COMPUTE_PGM_RSRC2:TGID_Z_EN: 0
; COMPUTE_PGM_RSRC2:TIDIG_COMP_CNT: 1
	.text
	.protected	_Z5task2PdS_ii          ; -- Begin function _Z5task2PdS_ii
	.globl	_Z5task2PdS_ii
	.p2align	8
	.type	_Z5task2PdS_ii,@function
_Z5task2PdS_ii:                         ; @_Z5task2PdS_ii
; %bb.0:
	s_clause 0x2
	s_load_b128 s[12:15], s[0:1], 0x8
	s_load_b32 s3, s[0:1], 0x18
	s_load_b32 s4, s[0:1], 0x24
	s_bfe_u32 s2, ttmp6, 0x4000c
	s_and_b32 s5, ttmp6, 15
	s_add_co_i32 s6, s2, 1
	s_getreg_b32 s2, hwreg(HW_REG_IB_STS2, 6, 4)
	s_mul_i32 s6, ttmp9, s6
	v_and_b32_e32 v1, 0x3ff, v0
	s_add_co_i32 s5, s5, s6
	s_wait_kmcnt 0x0
	s_load_b64 s[6:7], s[12:13], 0x10
	s_mul_i32 s3, s3, s14
	s_and_b32 s4, s4, 0xffff
	s_cmp_eq_u32 s2, 0
	s_cselect_b32 s5, ttmp9, s5
	s_delay_alu instid0(SALU_CYCLE_1) | instskip(NEXT) | instid1(SALU_CYCLE_1)
	s_add_co_i32 s3, s3, s5
	v_mad_u32 v78, s3, s4, v1
	s_mov_b32 s3, exec_lo
	s_delay_alu instid0(VALU_DEP_1) | instskip(SKIP_1) | instid1(VALU_DEP_1)
	v_cvt_f64_u32_e32 v[2:3], v78
	s_wait_kmcnt 0x0
	v_cmpx_nle_f64_e32 s[6:7], v[2:3]
	s_cbranch_execz .LBB1_175
; %bb.1:
	s_add_nc_u64 s[4:5], s[0:1], 24
	v_bfe_u32 v0, v0, 10, 10
	s_clause 0x1
	s_load_b32 s3, s[4:5], 0x4
	s_load_u16 s8, s[4:5], 0xe
	s_wait_xcnt 0x0
	s_bfe_u32 s4, ttmp6, 0x40010
	s_bfe_u32 s5, ttmp6, 0x40004
	s_add_co_i32 s4, s4, 1
	s_delay_alu instid0(SALU_CYCLE_1) | instskip(NEXT) | instid1(SALU_CYCLE_1)
	s_mul_i32 s4, ttmp7, s4
	s_add_co_i32 s5, s5, s4
	s_cmp_eq_u32 s2, 0
	s_wait_kmcnt 0x0
	s_mul_i32 s2, s3, s15
	s_cselect_b32 s3, ttmp7, s5
	s_delay_alu instid0(SALU_CYCLE_1) | instskip(NEXT) | instid1(SALU_CYCLE_1)
	s_add_co_i32 s2, s2, s3
	v_mad_u32 v79, s2, s8, v0
	s_delay_alu instid0(VALU_DEP_1) | instskip(NEXT) | instid1(VALU_DEP_1)
	v_cvt_f64_u32_e32 v[0:1], v79
	v_cmp_nle_f64_e32 vcc_lo, s[6:7], v[0:1]
	s_and_b32 exec_lo, exec_lo, vcc_lo
	s_cbranch_execz .LBB1_175
; %bb.2:
	s_load_b128 s[8:11], s[12:13], 0x0
	s_mov_b64 s[2:3], 0x3f91df46a1fae712
	s_wait_kmcnt 0x0
	v_mul_f64_e64 v[4:5], s[10:11], s[2:3]
	s_delay_alu instid0(VALU_DEP_1) | instskip(NEXT) | instid1(VALU_DEP_2)
	v_readfirstlane_b32 s14, v4
	v_readfirstlane_b32 s15, v5
	v_cmp_ngt_f64_e64 s10, 0x41d00000, |v[4:5]|
	s_delay_alu instid0(VALU_DEP_2)
	v_trig_preop_f64 v[12:13], |s[14:15]|, 0
	v_trig_preop_f64 v[10:11], |s[14:15]|, 1
	v_cmp_le_f64_e64 s2, 0x7b000000, |s[14:15]|
	v_ldexp_f64 v[22:23], |s[14:15]|, 0xffffff80
	v_trig_preop_f64 v[8:9], |s[14:15]|, 2
	s_and_b32 vcc_lo, exec_lo, s10
	s_cbranch_vccz .LBB1_4
; %bb.3:
	s_and_b32 s3, s15, 0x7fffffff
	s_delay_alu instid0(VALU_DEP_2) | instskip(NEXT) | instid1(VALU_DEP_3)
	v_cndmask_b32_e64 v4, s14, v22, s2
	v_cndmask_b32_e64 v5, s3, v23, s2
	s_mov_b32 s2, 0
	s_mov_b64 s[4:5], 0x3ff921fb54442d18
	s_delay_alu instid0(VALU_DEP_1) | instskip(SKIP_1) | instid1(VALU_DEP_2)
	v_mul_f64_e32 v[6:7], v[12:13], v[4:5]
	v_mul_f64_e32 v[14:15], v[10:11], v[4:5]
	v_fma_f64 v[16:17], v[12:13], v[4:5], -v[6:7]
	s_delay_alu instid0(VALU_DEP_1) | instskip(NEXT) | instid1(VALU_DEP_1)
	v_add_f64_e32 v[18:19], v[14:15], v[16:17]
	v_add_f64_e64 v[20:21], v[18:19], -v[14:15]
	v_add_f64_e32 v[26:27], v[6:7], v[18:19]
	s_delay_alu instid0(VALU_DEP_2) | instskip(SKIP_2) | instid1(VALU_DEP_4)
	v_add_f64_e64 v[24:25], v[18:19], -v[20:21]
	v_fma_f64 v[30:31], v[10:11], v[4:5], -v[14:15]
	v_add_f64_e64 v[16:17], v[16:17], -v[20:21]
	v_ldexp_f64 v[20:21], v[26:27], -2
	v_mul_f64_e32 v[28:29], v[8:9], v[4:5]
	v_add_f64_e64 v[14:15], v[14:15], -v[24:25]
	s_delay_alu instid0(VALU_DEP_3) | instskip(NEXT) | instid1(VALU_DEP_3)
	v_cmp_neq_f64_e64 vcc_lo, 0x7ff00000, |v[20:21]|
	v_add_f64_e32 v[24:25], v[28:29], v[30:31]
	v_fma_f64 v[4:5], v[8:9], v[4:5], -v[28:29]
	s_delay_alu instid0(VALU_DEP_4) | instskip(SKIP_1) | instid1(VALU_DEP_1)
	v_add_f64_e32 v[14:15], v[16:17], v[14:15]
	v_fract_f64_e32 v[16:17], v[20:21]
	v_ldexp_f64 v[16:17], v[16:17], 2
	s_delay_alu instid0(VALU_DEP_1) | instskip(NEXT) | instid1(VALU_DEP_1)
	v_dual_add_f64 v[6:7], v[26:27], -v[6:7] :: v_dual_cndmask_b32 v16, 0, v16, vcc_lo
	v_dual_add_f64 v[6:7], v[18:19], -v[6:7] :: v_dual_cndmask_b32 v17, 0, v17, vcc_lo
	v_add_f64_e32 v[18:19], v[24:25], v[14:15]
	s_delay_alu instid0(VALU_DEP_1) | instskip(SKIP_1) | instid1(VALU_DEP_2)
	v_add_f64_e32 v[20:21], v[6:7], v[18:19]
	v_add_f64_e64 v[32:33], v[18:19], -v[24:25]
	v_add_f64_e32 v[26:27], v[20:21], v[16:17]
	s_delay_alu instid0(VALU_DEP_2) | instskip(SKIP_2) | instid1(VALU_DEP_4)
	v_add_f64_e64 v[38:39], v[18:19], -v[32:33]
	v_add_f64_e64 v[14:15], v[14:15], -v[32:33]
	;; [unrolled: 1-line block ×3, first 2 shown]
	v_cmp_gt_f64_e32 vcc_lo, 0, v[26:27]
	v_add_f64_e64 v[26:27], v[24:25], -v[28:29]
	s_delay_alu instid0(VALU_DEP_3) | instskip(SKIP_2) | instid1(VALU_DEP_2)
	v_add_f64_e64 v[6:7], v[18:19], -v[6:7]
	s_and_b32 s3, vcc_lo, exec_lo
	s_cselect_b32 s3, 0x40100000, 0
	v_add_f64_e64 v[36:37], v[24:25], -v[26:27]
	v_add_f64_e32 v[16:17], s[2:3], v[16:17]
	v_add_f64_e64 v[26:27], v[30:31], -v[26:27]
	v_add_f64_e64 v[24:25], v[24:25], -v[38:39]
	s_delay_alu instid0(VALU_DEP_4) | instskip(NEXT) | instid1(VALU_DEP_4)
	v_add_f64_e64 v[30:31], v[28:29], -v[36:37]
	v_add_f64_e32 v[34:35], v[20:21], v[16:17]
	s_delay_alu instid0(VALU_DEP_3) | instskip(NEXT) | instid1(VALU_DEP_3)
	v_add_f64_e32 v[14:15], v[14:15], v[24:25]
	v_add_f64_e32 v[26:27], v[26:27], v[30:31]
	s_delay_alu instid0(VALU_DEP_3) | instskip(NEXT) | instid1(VALU_DEP_2)
	v_cvt_i32_f64_e32 v34, v[34:35]
	v_add_f64_e32 v[14:15], v[26:27], v[14:15]
	s_delay_alu instid0(VALU_DEP_2) | instskip(NEXT) | instid1(VALU_DEP_2)
	v_cvt_f64_i32_e32 v[32:33], v34
	v_add_f64_e32 v[4:5], v[4:5], v[14:15]
	s_delay_alu instid0(VALU_DEP_2) | instskip(NEXT) | instid1(VALU_DEP_2)
	v_add_f64_e64 v[16:17], v[16:17], -v[32:33]
	v_add_f64_e32 v[4:5], v[6:7], v[4:5]
	s_delay_alu instid0(VALU_DEP_2) | instskip(NEXT) | instid1(VALU_DEP_1)
	v_add_f64_e32 v[24:25], v[20:21], v[16:17]
	v_add_f64_e64 v[14:15], v[24:25], -v[16:17]
	v_cmp_le_f64_e32 vcc_lo, 0.5, v[24:25]
	s_delay_alu instid0(VALU_DEP_2) | instskip(SKIP_3) | instid1(VALU_DEP_2)
	v_add_f64_e64 v[6:7], v[20:21], -v[14:15]
	s_and_b32 s3, vcc_lo, exec_lo
	s_cselect_b32 s3, 0x3ff00000, 0
	v_add_co_ci_u32_e64 v60, null, 0, v34, vcc_lo
	v_add_f64_e32 v[4:5], v[4:5], v[6:7]
	v_add_f64_e64 v[6:7], v[24:25], -s[2:3]
	s_delay_alu instid0(VALU_DEP_1) | instskip(NEXT) | instid1(VALU_DEP_1)
	v_add_f64_e32 v[14:15], v[6:7], v[4:5]
	v_mul_f64_e32 v[16:17], 0x3ff921fb54442d18, v[14:15]
	v_add_f64_e64 v[6:7], v[14:15], -v[6:7]
	s_delay_alu instid0(VALU_DEP_2) | instskip(NEXT) | instid1(VALU_DEP_2)
	v_fma_f64 v[18:19], v[14:15], s[4:5], -v[16:17]
	v_add_f64_e64 v[4:5], v[4:5], -v[6:7]
	s_delay_alu instid0(VALU_DEP_2) | instskip(NEXT) | instid1(VALU_DEP_1)
	v_fmamk_f64 v[6:7], v[14:15], 0x3c91a62633145c07, v[18:19]
	v_fmac_f64_e32 v[6:7], 0x3ff921fb54442d18, v[4:5]
	s_delay_alu instid0(VALU_DEP_1) | instskip(NEXT) | instid1(VALU_DEP_1)
	v_add_f64_e32 v[4:5], v[16:17], v[6:7]
	v_add_f64_e64 v[14:15], v[4:5], -v[16:17]
	s_delay_alu instid0(VALU_DEP_1)
	v_add_f64_e64 v[6:7], v[6:7], -v[14:15]
	s_cbranch_execz .LBB1_5
	s_branch .LBB1_6
.LBB1_4:
                                        ; implicit-def: $vgpr60
                                        ; implicit-def: $vgpr4_vgpr5
                                        ; implicit-def: $vgpr6_vgpr7
.LBB1_5:
	s_mov_b64 s[2:3], 0x3fe45f306dc9c883
	s_delay_alu instid0(SALU_CYCLE_1) | instskip(SKIP_1) | instid1(VALU_DEP_1)
	v_mul_f64_e64 v[4:5], |s[14:15]|, s[2:3]
	s_mov_b64 s[2:3], 0xbff921fb54442d18
	v_rndne_f64_e32 v[14:15], v[4:5]
	s_delay_alu instid0(VALU_DEP_1) | instskip(SKIP_2) | instid1(VALU_DEP_3)
	v_fma_f64 v[4:5], v[14:15], s[2:3], |s[14:15]|
	v_mul_f64_e32 v[6:7], 0xbc91a62633145c00, v[14:15]
	v_cvt_i32_f64_e32 v60, v[14:15]
	v_fmamk_f64 v[20:21], v[14:15], 0xbc91a62633145c00, v[4:5]
	s_delay_alu instid0(VALU_DEP_3) | instskip(NEXT) | instid1(VALU_DEP_1)
	v_add_f64_e32 v[16:17], v[4:5], v[6:7]
	v_add_f64_e64 v[18:19], v[4:5], -v[16:17]
	s_delay_alu instid0(VALU_DEP_3) | instskip(NEXT) | instid1(VALU_DEP_2)
	v_add_f64_e64 v[4:5], v[16:17], -v[20:21]
	v_add_f64_e32 v[16:17], v[18:19], v[6:7]
	v_fmamk_f64 v[6:7], v[14:15], 0x3c91a62633145c00, v[6:7]
	s_delay_alu instid0(VALU_DEP_2) | instskip(NEXT) | instid1(VALU_DEP_1)
	v_add_f64_e32 v[4:5], v[4:5], v[16:17]
	v_add_f64_e64 v[4:5], v[4:5], -v[6:7]
	s_delay_alu instid0(VALU_DEP_1) | instskip(NEXT) | instid1(VALU_DEP_1)
	v_fmamk_f64 v[6:7], v[14:15], 0xb97b839a252049c0, v[4:5]
	v_add_f64_e32 v[4:5], v[20:21], v[6:7]
	s_delay_alu instid0(VALU_DEP_1) | instskip(NEXT) | instid1(VALU_DEP_1)
	v_add_f64_e64 v[16:17], v[4:5], -v[20:21]
	v_add_f64_e64 v[6:7], v[6:7], -v[16:17]
.LBB1_6:
	s_and_b32 vcc_lo, exec_lo, s10
	s_cbranch_vccz .LBB1_8
; %bb.7:
	v_cmp_le_f64_e64 vcc_lo, 0x7b000000, |s[14:15]|
	s_and_b32 s2, s15, 0x7fffffff
	s_mov_b64 s[4:5], 0x3ff921fb54442d18
	v_cndmask_b32_e32 v15, s2, v23, vcc_lo
	v_cndmask_b32_e32 v14, s14, v22, vcc_lo
	s_mov_b32 s2, 0
	s_delay_alu instid0(VALU_DEP_1) | instskip(SKIP_1) | instid1(VALU_DEP_2)
	v_mul_f64_e32 v[16:17], v[12:13], v[14:15]
	v_mul_f64_e32 v[18:19], v[10:11], v[14:15]
	v_fma_f64 v[20:21], v[12:13], v[14:15], -v[16:17]
	s_delay_alu instid0(VALU_DEP_1) | instskip(NEXT) | instid1(VALU_DEP_1)
	v_add_f64_e32 v[24:25], v[18:19], v[20:21]
	v_add_f64_e64 v[26:27], v[24:25], -v[18:19]
	v_add_f64_e32 v[30:31], v[16:17], v[24:25]
	v_fma_f64 v[34:35], v[10:11], v[14:15], -v[18:19]
	v_mul_f64_e32 v[32:33], v[8:9], v[14:15]
	s_delay_alu instid0(VALU_DEP_4) | instskip(SKIP_2) | instid1(VALU_DEP_4)
	v_add_f64_e64 v[28:29], v[24:25], -v[26:27]
	v_add_f64_e64 v[20:21], v[20:21], -v[26:27]
	v_ldexp_f64 v[26:27], v[30:31], -2
	v_fma_f64 v[14:15], v[8:9], v[14:15], -v[32:33]
	s_delay_alu instid0(VALU_DEP_4) | instskip(SKIP_1) | instid1(VALU_DEP_4)
	v_add_f64_e64 v[18:19], v[18:19], -v[28:29]
	v_add_f64_e32 v[28:29], v[32:33], v[34:35]
	v_cmp_neq_f64_e64 vcc_lo, 0x7ff00000, |v[26:27]|
	s_delay_alu instid0(VALU_DEP_3) | instskip(SKIP_1) | instid1(VALU_DEP_1)
	v_add_f64_e32 v[18:19], v[20:21], v[18:19]
	v_fract_f64_e32 v[20:21], v[26:27]
	v_ldexp_f64 v[20:21], v[20:21], 2
	s_delay_alu instid0(VALU_DEP_1) | instskip(SKIP_1) | instid1(VALU_DEP_3)
	v_cndmask_b32_e32 v21, 0, v21, vcc_lo
	v_add_f64_e64 v[16:17], v[30:31], -v[16:17]
	v_cndmask_b32_e32 v20, 0, v20, vcc_lo
	s_delay_alu instid0(VALU_DEP_2) | instskip(SKIP_1) | instid1(VALU_DEP_1)
	v_add_f64_e64 v[16:17], v[24:25], -v[16:17]
	v_add_f64_e32 v[24:25], v[28:29], v[18:19]
	v_add_f64_e32 v[26:27], v[16:17], v[24:25]
	v_add_f64_e64 v[36:37], v[24:25], -v[28:29]
	s_delay_alu instid0(VALU_DEP_2) | instskip(NEXT) | instid1(VALU_DEP_2)
	v_add_f64_e32 v[30:31], v[26:27], v[20:21]
	v_add_f64_e64 v[42:43], v[24:25], -v[36:37]
	v_add_f64_e64 v[18:19], v[18:19], -v[36:37]
	;; [unrolled: 1-line block ×3, first 2 shown]
	s_delay_alu instid0(VALU_DEP_4) | instskip(SKIP_1) | instid1(VALU_DEP_3)
	v_cmp_gt_f64_e32 vcc_lo, 0, v[30:31]
	v_add_f64_e64 v[30:31], v[28:29], -v[32:33]
	v_add_f64_e64 v[16:17], v[24:25], -v[16:17]
	s_and_b32 s3, vcc_lo, exec_lo
	s_cselect_b32 s3, 0x40100000, 0
	s_delay_alu instid0(VALU_DEP_2) | instskip(SKIP_3) | instid1(VALU_DEP_4)
	v_add_f64_e64 v[40:41], v[28:29], -v[30:31]
	v_add_f64_e32 v[20:21], s[2:3], v[20:21]
	v_add_f64_e64 v[30:31], v[34:35], -v[30:31]
	v_add_f64_e64 v[28:29], v[28:29], -v[42:43]
	;; [unrolled: 1-line block ×3, first 2 shown]
	s_delay_alu instid0(VALU_DEP_4) | instskip(NEXT) | instid1(VALU_DEP_3)
	v_add_f64_e32 v[38:39], v[26:27], v[20:21]
	v_add_f64_e32 v[18:19], v[18:19], v[28:29]
	s_delay_alu instid0(VALU_DEP_3) | instskip(NEXT) | instid1(VALU_DEP_3)
	v_add_f64_e32 v[30:31], v[30:31], v[34:35]
	v_cvt_i32_f64_e32 v38, v[38:39]
	s_delay_alu instid0(VALU_DEP_2) | instskip(NEXT) | instid1(VALU_DEP_2)
	v_add_f64_e32 v[18:19], v[30:31], v[18:19]
	v_cvt_f64_i32_e32 v[36:37], v38
	s_delay_alu instid0(VALU_DEP_2) | instskip(NEXT) | instid1(VALU_DEP_2)
	v_add_f64_e32 v[14:15], v[14:15], v[18:19]
	v_add_f64_e64 v[20:21], v[20:21], -v[36:37]
	s_delay_alu instid0(VALU_DEP_2) | instskip(NEXT) | instid1(VALU_DEP_2)
	v_add_f64_e32 v[14:15], v[16:17], v[14:15]
	v_add_f64_e32 v[28:29], v[26:27], v[20:21]
	s_delay_alu instid0(VALU_DEP_1) | instskip(SKIP_1) | instid1(VALU_DEP_2)
	v_add_f64_e64 v[18:19], v[28:29], -v[20:21]
	v_cmp_le_f64_e32 vcc_lo, 0.5, v[28:29]
	v_add_f64_e64 v[16:17], v[26:27], -v[18:19]
	s_and_b32 s3, vcc_lo, exec_lo
	s_cselect_b32 s3, 0x3ff00000, 0
	v_add_co_ci_u32_e64 v61, null, 0, v38, vcc_lo
	s_delay_alu instid0(VALU_DEP_2) | instskip(SKIP_1) | instid1(VALU_DEP_1)
	v_add_f64_e32 v[14:15], v[14:15], v[16:17]
	v_add_f64_e64 v[16:17], v[28:29], -s[2:3]
	v_add_f64_e32 v[18:19], v[16:17], v[14:15]
	s_delay_alu instid0(VALU_DEP_1) | instskip(SKIP_1) | instid1(VALU_DEP_2)
	v_mul_f64_e32 v[20:21], 0x3ff921fb54442d18, v[18:19]
	v_add_f64_e64 v[16:17], v[18:19], -v[16:17]
	v_fma_f64 v[24:25], v[18:19], s[4:5], -v[20:21]
	s_delay_alu instid0(VALU_DEP_2) | instskip(NEXT) | instid1(VALU_DEP_2)
	v_add_f64_e64 v[14:15], v[14:15], -v[16:17]
	v_fmamk_f64 v[16:17], v[18:19], 0x3c91a62633145c07, v[24:25]
	s_delay_alu instid0(VALU_DEP_1) | instskip(NEXT) | instid1(VALU_DEP_1)
	v_fmac_f64_e32 v[16:17], 0x3ff921fb54442d18, v[14:15]
	v_add_f64_e32 v[14:15], v[20:21], v[16:17]
	s_delay_alu instid0(VALU_DEP_1) | instskip(NEXT) | instid1(VALU_DEP_1)
	v_add_f64_e64 v[18:19], v[14:15], -v[20:21]
	v_add_f64_e64 v[16:17], v[16:17], -v[18:19]
	s_cbranch_execz .LBB1_9
	s_branch .LBB1_10
.LBB1_8:
                                        ; implicit-def: $vgpr61
                                        ; implicit-def: $vgpr14_vgpr15
                                        ; implicit-def: $vgpr16_vgpr17
.LBB1_9:
	s_mov_b64 s[2:3], 0x3fe45f306dc9c883
	s_delay_alu instid0(SALU_CYCLE_1) | instskip(SKIP_1) | instid1(VALU_DEP_1)
	v_mul_f64_e64 v[14:15], |s[14:15]|, s[2:3]
	s_mov_b64 s[2:3], 0xbff921fb54442d18
	v_rndne_f64_e32 v[18:19], v[14:15]
	s_delay_alu instid0(VALU_DEP_1) | instskip(SKIP_2) | instid1(VALU_DEP_3)
	v_fma_f64 v[14:15], v[18:19], s[2:3], |s[14:15]|
	v_mul_f64_e32 v[16:17], 0xbc91a62633145c00, v[18:19]
	v_cvt_i32_f64_e32 v61, v[18:19]
	v_fmamk_f64 v[26:27], v[18:19], 0xbc91a62633145c00, v[14:15]
	s_delay_alu instid0(VALU_DEP_3) | instskip(NEXT) | instid1(VALU_DEP_1)
	v_add_f64_e32 v[20:21], v[14:15], v[16:17]
	v_add_f64_e64 v[24:25], v[14:15], -v[20:21]
	s_delay_alu instid0(VALU_DEP_3) | instskip(NEXT) | instid1(VALU_DEP_2)
	v_add_f64_e64 v[14:15], v[20:21], -v[26:27]
	v_add_f64_e32 v[20:21], v[24:25], v[16:17]
	v_fmamk_f64 v[16:17], v[18:19], 0x3c91a62633145c00, v[16:17]
	s_delay_alu instid0(VALU_DEP_2) | instskip(NEXT) | instid1(VALU_DEP_1)
	v_add_f64_e32 v[14:15], v[14:15], v[20:21]
	v_add_f64_e64 v[14:15], v[14:15], -v[16:17]
	s_delay_alu instid0(VALU_DEP_1) | instskip(NEXT) | instid1(VALU_DEP_1)
	v_fmamk_f64 v[16:17], v[18:19], 0xb97b839a252049c0, v[14:15]
	v_add_f64_e32 v[14:15], v[26:27], v[16:17]
	s_delay_alu instid0(VALU_DEP_1) | instskip(NEXT) | instid1(VALU_DEP_1)
	v_add_f64_e64 v[20:21], v[14:15], -v[26:27]
	v_add_f64_e64 v[16:17], v[16:17], -v[20:21]
.LBB1_10:
	s_and_b32 vcc_lo, exec_lo, s10
	s_cbranch_vccz .LBB1_12
; %bb.11:
	v_cmp_le_f64_e64 vcc_lo, 0x7b000000, |s[14:15]|
	s_and_b32 s2, s15, 0x7fffffff
	s_mov_b64 s[4:5], 0x3ff921fb54442d18
	v_cndmask_b32_e32 v19, s2, v23, vcc_lo
	v_cndmask_b32_e32 v18, s14, v22, vcc_lo
	s_mov_b32 s2, 0
	s_delay_alu instid0(VALU_DEP_1) | instskip(SKIP_1) | instid1(VALU_DEP_2)
	v_mul_f64_e32 v[20:21], v[12:13], v[18:19]
	v_mul_f64_e32 v[24:25], v[10:11], v[18:19]
	v_fma_f64 v[26:27], v[12:13], v[18:19], -v[20:21]
	s_delay_alu instid0(VALU_DEP_1) | instskip(NEXT) | instid1(VALU_DEP_1)
	v_add_f64_e32 v[28:29], v[24:25], v[26:27]
	v_add_f64_e64 v[30:31], v[28:29], -v[24:25]
	v_add_f64_e32 v[34:35], v[20:21], v[28:29]
	v_fma_f64 v[38:39], v[10:11], v[18:19], -v[24:25]
	v_mul_f64_e32 v[36:37], v[8:9], v[18:19]
	s_delay_alu instid0(VALU_DEP_4) | instskip(SKIP_2) | instid1(VALU_DEP_4)
	v_add_f64_e64 v[32:33], v[28:29], -v[30:31]
	v_add_f64_e64 v[26:27], v[26:27], -v[30:31]
	v_ldexp_f64 v[30:31], v[34:35], -2
	v_fma_f64 v[18:19], v[8:9], v[18:19], -v[36:37]
	s_delay_alu instid0(VALU_DEP_2) | instskip(SKIP_2) | instid1(VALU_DEP_2)
	v_cmp_neq_f64_e64 vcc_lo, 0x7ff00000, |v[30:31]|
	v_add_f64_e64 v[24:25], v[24:25], -v[32:33]
	v_add_f64_e32 v[32:33], v[36:37], v[38:39]
	v_add_f64_e32 v[24:25], v[26:27], v[24:25]
	v_fract_f64_e32 v[26:27], v[30:31]
	s_delay_alu instid0(VALU_DEP_1) | instskip(NEXT) | instid1(VALU_DEP_1)
	v_ldexp_f64 v[26:27], v[26:27], 2
	v_dual_add_f64 v[20:21], v[34:35], -v[20:21] :: v_dual_cndmask_b32 v26, 0, v26, vcc_lo
	s_delay_alu instid0(VALU_DEP_1) | instskip(NEXT) | instid1(VALU_DEP_3)
	v_add_f64_e64 v[20:21], v[28:29], -v[20:21]
	v_dual_add_f64 v[28:29], v[32:33], v[24:25] :: v_dual_cndmask_b32 v27, 0, v27, vcc_lo
	s_delay_alu instid0(VALU_DEP_1) | instskip(SKIP_1) | instid1(VALU_DEP_2)
	v_add_f64_e32 v[30:31], v[20:21], v[28:29]
	v_add_f64_e64 v[40:41], v[28:29], -v[32:33]
	v_add_f64_e32 v[34:35], v[30:31], v[26:27]
	s_delay_alu instid0(VALU_DEP_2) | instskip(SKIP_2) | instid1(VALU_DEP_4)
	v_add_f64_e64 v[46:47], v[28:29], -v[40:41]
	v_add_f64_e64 v[24:25], v[24:25], -v[40:41]
	;; [unrolled: 1-line block ×3, first 2 shown]
	v_cmp_gt_f64_e32 vcc_lo, 0, v[34:35]
	v_add_f64_e64 v[34:35], v[32:33], -v[36:37]
	s_delay_alu instid0(VALU_DEP_3) | instskip(SKIP_2) | instid1(VALU_DEP_2)
	v_add_f64_e64 v[20:21], v[28:29], -v[20:21]
	s_and_b32 s3, vcc_lo, exec_lo
	s_cselect_b32 s3, 0x40100000, 0
	v_add_f64_e64 v[44:45], v[32:33], -v[34:35]
	v_add_f64_e32 v[26:27], s[2:3], v[26:27]
	v_add_f64_e64 v[34:35], v[38:39], -v[34:35]
	v_add_f64_e64 v[32:33], v[32:33], -v[46:47]
	s_delay_alu instid0(VALU_DEP_4) | instskip(NEXT) | instid1(VALU_DEP_4)
	v_add_f64_e64 v[38:39], v[36:37], -v[44:45]
	v_add_f64_e32 v[42:43], v[30:31], v[26:27]
	s_delay_alu instid0(VALU_DEP_3) | instskip(NEXT) | instid1(VALU_DEP_3)
	v_add_f64_e32 v[24:25], v[24:25], v[32:33]
	v_add_f64_e32 v[34:35], v[34:35], v[38:39]
	s_delay_alu instid0(VALU_DEP_3) | instskip(NEXT) | instid1(VALU_DEP_2)
	v_cvt_i32_f64_e32 v42, v[42:43]
	v_add_f64_e32 v[24:25], v[34:35], v[24:25]
	s_delay_alu instid0(VALU_DEP_2) | instskip(NEXT) | instid1(VALU_DEP_2)
	v_cvt_f64_i32_e32 v[40:41], v42
	v_add_f64_e32 v[18:19], v[18:19], v[24:25]
	s_delay_alu instid0(VALU_DEP_2) | instskip(NEXT) | instid1(VALU_DEP_2)
	v_add_f64_e64 v[26:27], v[26:27], -v[40:41]
	v_add_f64_e32 v[18:19], v[20:21], v[18:19]
	s_delay_alu instid0(VALU_DEP_2) | instskip(NEXT) | instid1(VALU_DEP_1)
	v_add_f64_e32 v[32:33], v[30:31], v[26:27]
	v_add_f64_e64 v[24:25], v[32:33], -v[26:27]
	v_cmp_le_f64_e32 vcc_lo, 0.5, v[32:33]
	s_delay_alu instid0(VALU_DEP_2) | instskip(SKIP_3) | instid1(VALU_DEP_2)
	v_add_f64_e64 v[20:21], v[30:31], -v[24:25]
	s_and_b32 s3, vcc_lo, exec_lo
	s_cselect_b32 s3, 0x3ff00000, 0
	v_add_co_ci_u32_e64 v62, null, 0, v42, vcc_lo
	v_add_f64_e32 v[18:19], v[18:19], v[20:21]
	v_add_f64_e64 v[20:21], v[32:33], -s[2:3]
	s_delay_alu instid0(VALU_DEP_1) | instskip(NEXT) | instid1(VALU_DEP_1)
	v_add_f64_e32 v[24:25], v[20:21], v[18:19]
	v_mul_f64_e32 v[26:27], 0x3ff921fb54442d18, v[24:25]
	v_add_f64_e64 v[20:21], v[24:25], -v[20:21]
	s_delay_alu instid0(VALU_DEP_2) | instskip(NEXT) | instid1(VALU_DEP_2)
	v_fma_f64 v[28:29], v[24:25], s[4:5], -v[26:27]
	v_add_f64_e64 v[18:19], v[18:19], -v[20:21]
	s_delay_alu instid0(VALU_DEP_2) | instskip(NEXT) | instid1(VALU_DEP_1)
	v_fmamk_f64 v[20:21], v[24:25], 0x3c91a62633145c07, v[28:29]
	v_fmac_f64_e32 v[20:21], 0x3ff921fb54442d18, v[18:19]
	s_delay_alu instid0(VALU_DEP_1) | instskip(NEXT) | instid1(VALU_DEP_1)
	v_add_f64_e32 v[18:19], v[26:27], v[20:21]
	v_add_f64_e64 v[24:25], v[18:19], -v[26:27]
	s_delay_alu instid0(VALU_DEP_1)
	v_add_f64_e64 v[24:25], v[20:21], -v[24:25]
	s_cbranch_execz .LBB1_13
	s_branch .LBB1_14
.LBB1_12:
                                        ; implicit-def: $vgpr62
                                        ; implicit-def: $vgpr18_vgpr19
                                        ; implicit-def: $vgpr24_vgpr25
.LBB1_13:
	s_mov_b64 s[2:3], 0x3fe45f306dc9c883
	s_delay_alu instid0(SALU_CYCLE_1) | instskip(SKIP_1) | instid1(VALU_DEP_1)
	v_mul_f64_e64 v[18:19], |s[14:15]|, s[2:3]
	s_mov_b64 s[2:3], 0xbff921fb54442d18
	v_rndne_f64_e32 v[20:21], v[18:19]
	s_delay_alu instid0(VALU_DEP_1) | instskip(SKIP_2) | instid1(VALU_DEP_3)
	v_fma_f64 v[18:19], v[20:21], s[2:3], |s[14:15]|
	v_mul_f64_e32 v[24:25], 0xbc91a62633145c00, v[20:21]
	v_cvt_i32_f64_e32 v62, v[20:21]
	v_fmamk_f64 v[30:31], v[20:21], 0xbc91a62633145c00, v[18:19]
	s_delay_alu instid0(VALU_DEP_3) | instskip(NEXT) | instid1(VALU_DEP_1)
	v_add_f64_e32 v[26:27], v[18:19], v[24:25]
	v_add_f64_e64 v[28:29], v[18:19], -v[26:27]
	s_delay_alu instid0(VALU_DEP_3) | instskip(NEXT) | instid1(VALU_DEP_2)
	v_add_f64_e64 v[18:19], v[26:27], -v[30:31]
	v_add_f64_e32 v[26:27], v[28:29], v[24:25]
	v_fmamk_f64 v[24:25], v[20:21], 0x3c91a62633145c00, v[24:25]
	s_delay_alu instid0(VALU_DEP_2) | instskip(NEXT) | instid1(VALU_DEP_1)
	v_add_f64_e32 v[18:19], v[18:19], v[26:27]
	v_add_f64_e64 v[18:19], v[18:19], -v[24:25]
	s_delay_alu instid0(VALU_DEP_1) | instskip(NEXT) | instid1(VALU_DEP_1)
	v_fmamk_f64 v[24:25], v[20:21], 0xb97b839a252049c0, v[18:19]
	v_add_f64_e32 v[18:19], v[30:31], v[24:25]
	s_delay_alu instid0(VALU_DEP_1) | instskip(NEXT) | instid1(VALU_DEP_1)
	v_add_f64_e64 v[26:27], v[18:19], -v[30:31]
	v_add_f64_e64 v[24:25], v[24:25], -v[26:27]
.LBB1_14:
	s_and_b32 vcc_lo, exec_lo, s10
	s_cbranch_vccz .LBB1_16
; %bb.15:
	v_cmp_le_f64_e64 vcc_lo, 0x7b000000, |s[14:15]|
	s_and_b32 s2, s15, 0x7fffffff
	s_mov_b64 s[4:5], 0x3ff921fb54442d18
	v_cndmask_b32_e32 v21, s2, v23, vcc_lo
	v_cndmask_b32_e32 v20, s14, v22, vcc_lo
	s_mov_b32 s2, 0
	s_delay_alu instid0(VALU_DEP_1) | instskip(SKIP_1) | instid1(VALU_DEP_2)
	v_mul_f64_e32 v[26:27], v[12:13], v[20:21]
	v_mul_f64_e32 v[28:29], v[10:11], v[20:21]
	v_fma_f64 v[30:31], v[12:13], v[20:21], -v[26:27]
	s_delay_alu instid0(VALU_DEP_1) | instskip(NEXT) | instid1(VALU_DEP_1)
	v_add_f64_e32 v[32:33], v[28:29], v[30:31]
	v_add_f64_e64 v[34:35], v[32:33], -v[28:29]
	v_add_f64_e32 v[38:39], v[26:27], v[32:33]
	v_fma_f64 v[42:43], v[10:11], v[20:21], -v[28:29]
	v_mul_f64_e32 v[40:41], v[8:9], v[20:21]
	s_delay_alu instid0(VALU_DEP_4) | instskip(SKIP_2) | instid1(VALU_DEP_4)
	v_add_f64_e64 v[36:37], v[32:33], -v[34:35]
	v_add_f64_e64 v[30:31], v[30:31], -v[34:35]
	v_ldexp_f64 v[34:35], v[38:39], -2
	v_fma_f64 v[20:21], v[8:9], v[20:21], -v[40:41]
	s_delay_alu instid0(VALU_DEP_4) | instskip(SKIP_1) | instid1(VALU_DEP_4)
	v_add_f64_e64 v[28:29], v[28:29], -v[36:37]
	v_add_f64_e32 v[36:37], v[40:41], v[42:43]
	v_cmp_neq_f64_e64 vcc_lo, 0x7ff00000, |v[34:35]|
	s_delay_alu instid0(VALU_DEP_3) | instskip(SKIP_1) | instid1(VALU_DEP_1)
	v_add_f64_e32 v[28:29], v[30:31], v[28:29]
	v_fract_f64_e32 v[30:31], v[34:35]
	v_ldexp_f64 v[30:31], v[30:31], 2
	s_delay_alu instid0(VALU_DEP_1) | instskip(SKIP_1) | instid1(VALU_DEP_3)
	v_cndmask_b32_e32 v31, 0, v31, vcc_lo
	v_add_f64_e64 v[26:27], v[38:39], -v[26:27]
	v_cndmask_b32_e32 v30, 0, v30, vcc_lo
	s_delay_alu instid0(VALU_DEP_2) | instskip(SKIP_1) | instid1(VALU_DEP_1)
	v_add_f64_e64 v[26:27], v[32:33], -v[26:27]
	v_add_f64_e32 v[32:33], v[36:37], v[28:29]
	v_add_f64_e32 v[34:35], v[26:27], v[32:33]
	v_add_f64_e64 v[44:45], v[32:33], -v[36:37]
	s_delay_alu instid0(VALU_DEP_2) | instskip(NEXT) | instid1(VALU_DEP_2)
	v_add_f64_e32 v[38:39], v[34:35], v[30:31]
	v_add_f64_e64 v[50:51], v[32:33], -v[44:45]
	v_add_f64_e64 v[28:29], v[28:29], -v[44:45]
	;; [unrolled: 1-line block ×3, first 2 shown]
	s_delay_alu instid0(VALU_DEP_4) | instskip(SKIP_1) | instid1(VALU_DEP_3)
	v_cmp_gt_f64_e32 vcc_lo, 0, v[38:39]
	v_add_f64_e64 v[38:39], v[36:37], -v[40:41]
	v_add_f64_e64 v[26:27], v[32:33], -v[26:27]
	s_and_b32 s3, vcc_lo, exec_lo
	s_cselect_b32 s3, 0x40100000, 0
	s_delay_alu instid0(VALU_DEP_2) | instskip(SKIP_3) | instid1(VALU_DEP_4)
	v_add_f64_e64 v[48:49], v[36:37], -v[38:39]
	v_add_f64_e32 v[30:31], s[2:3], v[30:31]
	v_add_f64_e64 v[38:39], v[42:43], -v[38:39]
	v_add_f64_e64 v[36:37], v[36:37], -v[50:51]
	;; [unrolled: 1-line block ×3, first 2 shown]
	s_delay_alu instid0(VALU_DEP_4) | instskip(NEXT) | instid1(VALU_DEP_3)
	v_add_f64_e32 v[46:47], v[34:35], v[30:31]
	v_add_f64_e32 v[28:29], v[28:29], v[36:37]
	s_delay_alu instid0(VALU_DEP_3) | instskip(NEXT) | instid1(VALU_DEP_3)
	v_add_f64_e32 v[38:39], v[38:39], v[42:43]
	v_cvt_i32_f64_e32 v46, v[46:47]
	s_delay_alu instid0(VALU_DEP_2) | instskip(NEXT) | instid1(VALU_DEP_2)
	v_add_f64_e32 v[28:29], v[38:39], v[28:29]
	v_cvt_f64_i32_e32 v[44:45], v46
	s_delay_alu instid0(VALU_DEP_2) | instskip(NEXT) | instid1(VALU_DEP_2)
	v_add_f64_e32 v[20:21], v[20:21], v[28:29]
	v_add_f64_e64 v[30:31], v[30:31], -v[44:45]
	s_delay_alu instid0(VALU_DEP_2) | instskip(NEXT) | instid1(VALU_DEP_2)
	v_add_f64_e32 v[20:21], v[26:27], v[20:21]
	v_add_f64_e32 v[36:37], v[34:35], v[30:31]
	s_delay_alu instid0(VALU_DEP_1) | instskip(SKIP_1) | instid1(VALU_DEP_2)
	v_add_f64_e64 v[28:29], v[36:37], -v[30:31]
	v_cmp_le_f64_e32 vcc_lo, 0.5, v[36:37]
	v_add_f64_e64 v[26:27], v[34:35], -v[28:29]
	s_and_b32 s3, vcc_lo, exec_lo
	s_cselect_b32 s3, 0x3ff00000, 0
	v_add_co_ci_u32_e64 v63, null, 0, v46, vcc_lo
	s_delay_alu instid0(VALU_DEP_2) | instskip(SKIP_1) | instid1(VALU_DEP_1)
	v_add_f64_e32 v[20:21], v[20:21], v[26:27]
	v_add_f64_e64 v[26:27], v[36:37], -s[2:3]
	v_add_f64_e32 v[28:29], v[26:27], v[20:21]
	s_delay_alu instid0(VALU_DEP_1) | instskip(SKIP_1) | instid1(VALU_DEP_2)
	v_mul_f64_e32 v[30:31], 0x3ff921fb54442d18, v[28:29]
	v_add_f64_e64 v[26:27], v[28:29], -v[26:27]
	v_fma_f64 v[32:33], v[28:29], s[4:5], -v[30:31]
	s_delay_alu instid0(VALU_DEP_2) | instskip(NEXT) | instid1(VALU_DEP_2)
	v_add_f64_e64 v[20:21], v[20:21], -v[26:27]
	v_fmamk_f64 v[26:27], v[28:29], 0x3c91a62633145c07, v[32:33]
	s_delay_alu instid0(VALU_DEP_1) | instskip(NEXT) | instid1(VALU_DEP_1)
	v_fmac_f64_e32 v[26:27], 0x3ff921fb54442d18, v[20:21]
	v_add_f64_e32 v[20:21], v[30:31], v[26:27]
	s_delay_alu instid0(VALU_DEP_1) | instskip(NEXT) | instid1(VALU_DEP_1)
	v_add_f64_e64 v[28:29], v[20:21], -v[30:31]
	v_add_f64_e64 v[26:27], v[26:27], -v[28:29]
	s_cbranch_execz .LBB1_17
	s_branch .LBB1_18
.LBB1_16:
                                        ; implicit-def: $vgpr63
                                        ; implicit-def: $vgpr20_vgpr21
                                        ; implicit-def: $vgpr26_vgpr27
.LBB1_17:
	s_mov_b64 s[2:3], 0x3fe45f306dc9c883
	s_delay_alu instid0(SALU_CYCLE_1) | instskip(SKIP_1) | instid1(VALU_DEP_1)
	v_mul_f64_e64 v[20:21], |s[14:15]|, s[2:3]
	s_mov_b64 s[2:3], 0xbff921fb54442d18
	v_rndne_f64_e32 v[28:29], v[20:21]
	s_delay_alu instid0(VALU_DEP_1) | instskip(SKIP_2) | instid1(VALU_DEP_3)
	v_fma_f64 v[20:21], v[28:29], s[2:3], |s[14:15]|
	v_mul_f64_e32 v[26:27], 0xbc91a62633145c00, v[28:29]
	v_cvt_i32_f64_e32 v63, v[28:29]
	v_fmamk_f64 v[34:35], v[28:29], 0xbc91a62633145c00, v[20:21]
	s_delay_alu instid0(VALU_DEP_3) | instskip(NEXT) | instid1(VALU_DEP_1)
	v_add_f64_e32 v[30:31], v[20:21], v[26:27]
	v_add_f64_e64 v[32:33], v[20:21], -v[30:31]
	s_delay_alu instid0(VALU_DEP_3) | instskip(NEXT) | instid1(VALU_DEP_2)
	v_add_f64_e64 v[20:21], v[30:31], -v[34:35]
	v_add_f64_e32 v[30:31], v[32:33], v[26:27]
	v_fmamk_f64 v[26:27], v[28:29], 0x3c91a62633145c00, v[26:27]
	s_delay_alu instid0(VALU_DEP_2) | instskip(NEXT) | instid1(VALU_DEP_1)
	v_add_f64_e32 v[20:21], v[20:21], v[30:31]
	v_add_f64_e64 v[20:21], v[20:21], -v[26:27]
	s_delay_alu instid0(VALU_DEP_1) | instskip(NEXT) | instid1(VALU_DEP_1)
	v_fmamk_f64 v[26:27], v[28:29], 0xb97b839a252049c0, v[20:21]
	v_add_f64_e32 v[20:21], v[34:35], v[26:27]
	s_delay_alu instid0(VALU_DEP_1) | instskip(NEXT) | instid1(VALU_DEP_1)
	v_add_f64_e64 v[30:31], v[20:21], -v[34:35]
	v_add_f64_e64 v[26:27], v[26:27], -v[30:31]
.LBB1_18:
	v_cvt_i32_f64_e32 v28, s[6:7]
	v_mul_f64_e32 v[44:45], v[18:19], v[18:19]
	v_mul_f64_e32 v[40:41], v[14:15], v[14:15]
	v_mov_b64_e32 v[66:67], 0xbe5ae600b42fdfa7
	v_mul_f64_e32 v[80:81], 0.5, v[16:17]
	v_mul_f64_e32 v[48:49], v[20:21], v[20:21]
	v_mov_b64_e32 v[90:91], 0x3ec71de3796cde01
	v_mul_f64_e32 v[68:69], 0.5, v[24:25]
	v_add_f64_e32 v[0:1], 1.0, v[0:1]
	v_add_f64_e32 v[2:3], 1.0, v[2:3]
	s_mov_b64 s[16:17], 0x3fedd9ad336a0500
	v_cvt_f64_i32_e32 v[28:29], v28
	v_mul_f64_e32 v[54:55], -0.5, v[44:45]
	v_fmamk_f64 v[58:59], v[44:45], 0x3de5e0b2f9a43bb8, v[66:67]
	v_fmamk_f64 v[84:85], v[40:41], 0x3de5e0b2f9a43bb8, v[66:67]
	v_mul_f64_e64 v[70:71], v[18:19], -v[44:45]
	v_mul_f64_e32 v[98:99], -0.5, v[48:49]
	s_delay_alu instid0(VALU_DEP_3) | instskip(SKIP_3) | instid1(VALU_DEP_2)
	v_fmaak_f64 v[84:85], v[40:41], v[84:85], 0x3ec71de3796cde01
	v_add_f64_e32 v[32:33], 1.0, v[28:29]
	v_mov_b64_e32 v[28:29], s[8:9]
	v_add_f64_e32 v[38:39], 1.0, v[54:55]
	v_fmaak_f64 v[28:29], s[8:9], v[28:29], 0x412e8480
	s_delay_alu instid0(VALU_DEP_1) | instskip(SKIP_1) | instid1(VALU_DEP_4)
	v_cmp_gt_f64_e32 vcc_lo, 0x10000000, v[28:29]
	v_div_scale_f64 v[46:47], null, v[32:33], v[32:33], 0x40340000
	v_add_f64_e64 v[72:73], -v[38:39], 1.0
	s_and_b32 s2, vcc_lo, exec_lo
	s_cselect_b32 s2, 0x100, 0
	v_div_scale_f64 v[76:77], vcc_lo, 0x40340000, v[32:33], 0x40340000
	v_ldexp_f64 v[28:29], v[28:29], s2
	v_cmp_class_f64_e64 s2, s[14:15], 0x1f8
	v_mul_f64_e32 v[52:53], -0.5, v[40:41]
	v_mul_f64_e32 v[36:37], v[4:5], v[4:5]
	v_rcp_f64_e32 v[42:43], v[46:47]
	v_add_f64_e32 v[54:55], v[72:73], v[54:55]
	v_fmaak_f64 v[72:73], v[40:41], v[84:85], 0xbf2a01a019e83e5c
	v_mov_b64_e32 v[84:85], 0x3e21eeb69037ab78
	s_delay_alu instid0(VALU_DEP_2) | instskip(NEXT) | instid1(VALU_DEP_2)
	v_fmaak_f64 v[72:73], v[40:41], v[72:73], 0x3f81111111110bb3
	v_fmamk_f64 v[92:93], v[44:45], 0xbda907db46cc5e42, v[84:85]
	v_fmamk_f64 v[96:97], v[40:41], 0xbda907db46cc5e42, v[84:85]
	s_delay_alu instid0(VALU_DEP_2)
	v_fmaak_f64 v[92:93], v[44:45], v[92:93], 0xbe927e4fa17f65f6
	v_rsq_f64_e32 v[34:35], v[28:29]
	v_add_f64_e32 v[50:51], 1.0, v[52:53]
	v_fmamk_f64 v[82:83], v[36:37], 0x3de5e0b2f9a43bb8, v[66:67]
	v_fmac_f64_e32 v[66:67], 0x3de5e0b2f9a43bb8, v[48:49]
	v_mul_f64_e32 v[64:65], -0.5, v[36:37]
	v_fmamk_f64 v[94:95], v[36:37], 0xbda907db46cc5e42, v[84:85]
	v_fmac_f64_e32 v[84:85], 0xbda907db46cc5e42, v[48:49]
	v_fmaak_f64 v[82:83], v[36:37], v[82:83], 0x3ec71de3796cde01
	v_fma_f64 v[54:55], v[18:19], -v[24:25], v[54:55]
	s_delay_alu instid0(VALU_DEP_2) | instskip(NEXT) | instid1(TRANS32_DEP_2)
	v_fmaak_f64 v[82:83], v[36:37], v[82:83], 0xbf2a01a019e83e5c
	v_fma_f64 v[30:31], -v[46:47], v[42:43], 1.0
	s_delay_alu instid0(VALU_DEP_2) | instskip(SKIP_4) | instid1(VALU_DEP_4)
	v_fmaak_f64 v[82:83], v[36:37], v[82:83], 0x3f81111111110bb3
	v_add_f64_e64 v[88:89], -v[50:51], 1.0
	v_fmac_f64_e32 v[90:91], v[48:49], v[66:67]
	v_mul_f64_e32 v[66:67], 0.5, v[6:7]
	v_fmac_f64_e32 v[42:43], v[42:43], v[30:31]
	v_add_f64_e32 v[52:53], v[88:89], v[52:53]
	v_mul_f64_e32 v[88:89], v[44:45], v[44:45]
	s_delay_alu instid0(VALU_DEP_3) | instskip(NEXT) | instid1(VALU_DEP_3)
	v_fma_f64 v[56:57], -v[46:47], v[42:43], 1.0
	v_fma_f64 v[52:53], v[14:15], -v[16:17], v[52:53]
	s_delay_alu instid0(VALU_DEP_2) | instskip(SKIP_2) | instid1(VALU_DEP_2)
	v_fmac_f64_e32 v[42:43], v[42:43], v[56:57]
	v_fmaak_f64 v[56:57], v[44:45], v[58:59], 0x3ec71de3796cde01
	v_mul_f64_e64 v[58:59], v[14:15], -v[40:41]
	v_fmaak_f64 v[86:87], v[44:45], v[56:57], 0xbf2a01a019e83e5c
	v_add_f64_e32 v[56:57], 1.0, v[64:65]
	s_delay_alu instid0(VALU_DEP_2) | instskip(NEXT) | instid1(VALU_DEP_1)
	v_fmaak_f64 v[86:87], v[44:45], v[86:87], 0x3f81111111110bb3
	v_fmac_f64_e32 v[68:69], v[70:71], v[86:87]
	v_mul_f64_e32 v[86:87], v[76:77], v[42:43]
	v_fmac_f64_e32 v[80:81], v[58:59], v[72:73]
	v_mul_f64_e64 v[72:73], v[4:5], -v[36:37]
	v_add_f64_e64 v[100:101], -v[56:57], 1.0
	v_fma_f64 v[68:69], v[44:45], v[68:69], -v[24:25]
	v_fmaak_f64 v[24:25], v[44:45], v[92:93], 0x3efa01a019f4ec90
	v_mov_b64_e32 v[92:93], 0xbe927e4fa17f65f6
	s_delay_alu instid0(VALU_DEP_2) | instskip(NEXT) | instid1(VALU_DEP_2)
	v_fmaak_f64 v[102:103], v[44:45], v[24:25], 0xbf56c16c16c16967
	v_fmac_f64_e32 v[92:93], v[48:49], v[84:85]
	v_add_f64_e32 v[24:25], 1.0, v[98:99]
	v_fma_f64 v[80:81], v[40:41], v[80:81], -v[16:17]
	v_fmac_f64_e32 v[66:67], v[72:73], v[82:83]
	v_fmaak_f64 v[16:17], v[44:45], v[102:103], 0x3fa5555555555555
	v_add_f64_e32 v[64:65], v[100:101], v[64:65]
	s_delay_alu instid0(VALU_DEP_2) | instskip(SKIP_2) | instid1(VALU_DEP_1)
	v_fmac_f64_e32 v[54:55], v[88:89], v[16:17]
	v_fmac_f64_e32 v[68:69], 0xbfc5555555555555, v[70:71]
	v_mov_b64_e32 v[70:71], 0x3efa01a019f4ec90
	v_fmac_f64_e32 v[70:71], v[48:49], v[92:93]
	v_fmac_f64_e32 v[80:81], 0xbfc5555555555555, v[58:59]
	v_fma_f64 v[66:67], v[36:37], v[66:67], -v[6:7]
	v_mul_f64_e32 v[58:59], v[36:37], v[36:37]
	v_fma_f64 v[64:65], v[4:5], -v[6:7], v[64:65]
	v_add_f64_e32 v[6:7], v[38:39], v[54:55]
	v_mov_b64_e32 v[38:39], 0xbf56c16c16c16967
	s_delay_alu instid0(VALU_DEP_1) | instskip(SKIP_2) | instid1(VALU_DEP_2)
	v_fmac_f64_e32 v[38:39], v[48:49], v[70:71]
	v_add_f64_e64 v[14:15], v[14:15], -v[80:81]
	v_fmac_f64_e32 v[66:67], 0xbfc5555555555555, v[72:73]
	v_xor_b32_e32 v15, 0x80000000, v15
	v_mul_f64_e32 v[30:31], v[28:29], v[34:35]
	v_mul_f64_e32 v[34:35], 0.5, v[34:35]
	s_delay_alu instid0(VALU_DEP_4) | instskip(SKIP_2) | instid1(VALU_DEP_1)
	v_add_f64_e64 v[4:5], v[4:5], -v[66:67]
	v_fma_f64 v[46:47], -v[46:47], v[86:87], v[76:77]
	v_mov_b64_e32 v[76:77], 0xbf2a01a019e83e5c
	v_fmac_f64_e32 v[76:77], v[48:49], v[90:91]
	v_fmaak_f64 v[90:91], v[40:41], v[96:97], 0xbe927e4fa17f65f6
	s_delay_alu instid0(VALU_DEP_1) | instskip(NEXT) | instid1(VALU_DEP_1)
	v_fmaak_f64 v[44:45], v[40:41], v[90:91], 0x3efa01a019f4ec90
	v_fmaak_f64 v[16:17], v[40:41], v[44:45], 0xbf56c16c16c16967
	v_mov_b64_e32 v[44:45], 0x3f81111111110bb3
	v_fma_f64 v[74:75], -v[34:35], v[30:31], 0.5
	v_div_fmas_f64 v[42:43], v[46:47], v[42:43], v[86:87]
	v_mul_f64_e32 v[46:47], 0.5, v[26:27]
	s_delay_alu instid0(VALU_DEP_4) | instskip(SKIP_1) | instid1(VALU_DEP_1)
	v_fmac_f64_e32 v[44:45], v[48:49], v[76:77]
	v_fmaak_f64 v[76:77], v[36:37], v[94:95], 0xbe927e4fa17f65f6
	v_fmaak_f64 v[76:77], v[36:37], v[76:77], 0x3efa01a019f4ec90
	s_delay_alu instid0(VALU_DEP_1) | instskip(SKIP_3) | instid1(VALU_DEP_4)
	v_fmaak_f64 v[54:55], v[36:37], v[76:77], 0xbf56c16c16c16967
	v_fmac_f64_e32 v[30:31], v[30:31], v[74:75]
	v_fmac_f64_e32 v[34:35], v[34:35], v[74:75]
	v_div_fixup_f64 v[42:43], v[42:43], v[32:33], 0x40340000
	v_fmaak_f64 v[32:33], v[36:37], v[54:55], 0x3fa5555555555555
	s_delay_alu instid0(VALU_DEP_1) | instskip(SKIP_1) | instid1(VALU_DEP_1)
	v_fmac_f64_e32 v[64:65], v[58:59], v[32:33]
	v_and_b32_e32 v32, 1, v62
	v_cmp_eq_u32_e32 vcc_lo, 0, v32
	v_fma_f64 v[74:75], -v[30:31], v[30:31], v[28:29]
	v_fmaak_f64 v[32:33], v[42:43], v[0:1], 0xc0240000
	v_mul_f64_e32 v[0:1], v[48:49], v[48:49]
	s_delay_alu instid0(VALU_DEP_3) | instskip(SKIP_1) | instid1(VALU_DEP_1)
	v_fmac_f64_e32 v[30:31], v[74:75], v[34:35]
	v_mul_f64_e64 v[74:75], v[20:21], -v[48:49]
	v_fmac_f64_e32 v[46:47], v[74:75], v[44:45]
	v_lshlrev_b32_e32 v44, 30, v61
	v_mul_f64_e32 v[84:85], v[40:41], v[40:41]
	v_fmaak_f64 v[16:17], v[40:41], v[16:17], 0x3fa5555555555555
	v_add_f64_e64 v[40:41], -v[24:25], 1.0
	s_delay_alu instid0(VALU_DEP_2) | instskip(SKIP_2) | instid1(VALU_DEP_4)
	v_fmac_f64_e32 v[52:53], v[84:85], v[16:17]
	v_add_f64_e64 v[16:17], v[18:19], -v[68:69]
	v_fma_f64 v[18:19], -v[30:31], v[30:31], v[28:29]
	v_add_f64_e32 v[36:37], v[40:41], v[98:99]
	s_delay_alu instid0(VALU_DEP_3) | instskip(NEXT) | instid1(VALU_DEP_3)
	v_cndmask_b32_e32 v6, v16, v6, vcc_lo
	v_fmac_f64_e32 v[30:31], v[18:19], v[34:35]
	v_mov_b64_e32 v[18:19], 0x3fa5555555555555
	s_delay_alu instid0(VALU_DEP_4) | instskip(NEXT) | instid1(VALU_DEP_4)
	v_dual_fma_f64 v[34:35], v[20:21], -v[26:27], v[36:37] :: v_dual_bitop2_b32 v16, 1, v61 bitop3:0x40
	v_dual_add_f64 v[36:37], v[56:57], v[64:65] :: v_dual_cndmask_b32 v6, 0, v6, s2
	s_delay_alu instid0(VALU_DEP_3) | instskip(NEXT) | instid1(VALU_DEP_3)
	v_fmac_f64_e32 v[18:19], v[48:49], v[38:39]
	v_cmp_eq_u32_e64 s3, 0, v16
	v_and_b32_e32 v16, 0x80000000, v44
	v_and_b32_e32 v38, 1, v60
	s_delay_alu instid0(VALU_DEP_1) | instskip(SKIP_1) | instid1(VALU_DEP_2)
	v_cmp_eq_u32_e64 s4, 0, v38
	v_fmac_f64_e32 v[34:35], v[0:1], v[18:19]
	v_dual_lshlrev_b32 v18, 30, v63 :: v_dual_cndmask_b32 v1, v36, v4, s4
	v_cndmask_b32_e64 v4, v37, v5, s4
	s_mov_b64 s[4:5], 0x3fa059859fea6a70
	s_delay_alu instid0(VALU_DEP_2) | instskip(NEXT) | instid1(VALU_DEP_1)
	v_dual_add_f64 v[40:41], v[50:51], v[52:53] :: v_dual_bitop2_b32 v18, s15, v18 bitop3:0x14
	v_dual_cndmask_b32 v15, v15, v41, s3 :: v_dual_cndmask_b32 v14, v14, v40, s3
	s_cselect_b32 s3, 0xffffff80, 0
	s_delay_alu instid0(SALU_CYCLE_1) | instskip(NEXT) | instid1(VALU_DEP_2)
	v_ldexp_f64 v[30:31], v[30:31], s3
	v_xor_b32_e32 v15, v15, v16
	s_delay_alu instid0(VALU_DEP_3) | instskip(SKIP_1) | instid1(VALU_DEP_3)
	v_dual_lshlrev_b32 v16, 30, v60 :: v_dual_cndmask_b32 v14, 0, v14, s2
	v_cmp_class_f64_e64 s3, v[28:29], 0x260
	v_cndmask_b32_e64 v15, 0x7ff80000, v15, s2
	s_delay_alu instid0(VALU_DEP_1) | instskip(NEXT) | instid1(VALU_DEP_1)
	v_dual_mul_f64 v[14:15], v[32:33], v[14:15] :: v_dual_bitop2_b32 v16, s15, v16 bitop3:0x14
	v_and_b32_e32 v0, 0x80000000, v16
	v_and_b32_e32 v16, 1, v63
	v_fma_f64 v[26:27], v[48:49], v[46:47], -v[26:27]
	s_delay_alu instid0(VALU_DEP_3) | instskip(NEXT) | instid1(VALU_DEP_1)
	v_dual_cndmask_b32 v0, 0, v1, s2 :: v_dual_bitop2_b32 v4, v4, v0 bitop3:0x14
	v_cndmask_b32_e64 v1, 0x7ff80000, v4, s2
	v_dual_cndmask_b32 v5, v31, v29, s3 :: v_dual_cndmask_b32 v4, v30, v28, s3
	v_cmp_eq_u32_e64 s3, 0, v16
	v_and_b32_e32 v16, 0x80000000, v18
	s_delay_alu instid0(VALU_DEP_3) | instskip(SKIP_3) | instid1(VALU_DEP_4)
	v_fma_f64 v[0:1], v[4:5], v[0:1], -v[14:15]
	v_add_f64_e32 v[4:5], v[24:25], v[34:35]
	v_fmaak_f64 v[34:35], v[42:43], v[2:3], 0xc0240000
	v_fmac_f64_e32 v[26:27], 0xbfc5555555555555, v[74:75]
	v_mul_f64_e32 v[2:3], v[0:1], v[0:1]
	s_delay_alu instid0(VALU_DEP_2) | instskip(NEXT) | instid1(VALU_DEP_2)
	v_add_f64_e64 v[14:15], v[20:21], -v[26:27]
	v_fmac_f64_e32 v[2:3], v[34:35], v[34:35]
	s_delay_alu instid0(VALU_DEP_2) | instskip(SKIP_2) | instid1(VALU_DEP_3)
	v_dual_cndmask_b32 v5, v5, v15, s3 :: v_dual_cndmask_b32 v4, v4, v14, s3
	v_lshlrev_b32_e32 v14, 30, v62
	v_xor_b32_e32 v15, 0x80000000, v17
	v_xor_b32_e32 v5, v5, v16
	s_delay_alu instid0(VALU_DEP_4) | instskip(NEXT) | instid1(VALU_DEP_4)
	v_cndmask_b32_e64 v4, 0, v4, s2
	v_and_b32_e32 v14, 0x80000000, v14
	s_delay_alu instid0(VALU_DEP_4) | instskip(NEXT) | instid1(VALU_DEP_4)
	v_cndmask_b32_e32 v7, v15, v7, vcc_lo
	v_cndmask_b32_e64 v5, 0x7ff80000, v5, s2
	s_delay_alu instid0(VALU_DEP_1) | instskip(NEXT) | instid1(VALU_DEP_1)
	v_dual_mul_f64 v[4:5], v[32:33], v[4:5] :: v_dual_bitop2_b32 v7, v7, v14 bitop3:0x14
	v_cndmask_b32_e64 v7, 0x7ff80000, v7, s2
	s_delay_alu instid0(VALU_DEP_1) | instskip(SKIP_1) | instid1(VALU_DEP_2)
	v_fmamk_f64 v[4:5], v[6:7], 0x408f4000, v[4:5]
	v_add_f64_e64 v[6:7], s[8:9], s[8:9]
	v_fmac_f64_e32 v[2:3], v[4:5], v[4:5]
	scratch_store_b64 off, v[6:7], off offset:192 ; 8-byte Folded Spill
	s_wait_xcnt 0x0
	v_mul_f64_e32 v[6:7], v[6:7], v[4:5]
	v_fma_f64 v[2:3], -s[8:9], s[8:9], v[2:3]
	s_delay_alu instid0(VALU_DEP_1) | instskip(NEXT) | instid1(VALU_DEP_1)
	v_mul_f64_e32 v[14:15], v[2:3], v[2:3]
	v_fmac_f64_e32 v[14:15], v[6:7], v[6:7]
	s_delay_alu instid0(VALU_DEP_1) | instskip(SKIP_1) | instid1(VALU_DEP_1)
	v_cmp_gt_f64_e32 vcc_lo, 0x10000000, v[14:15]
	v_cndmask_b32_e64 v6, 0, 0x100, vcc_lo
	v_ldexp_f64 v[6:7], v[14:15], v6
	s_delay_alu instid0(VALU_DEP_1) | instskip(SKIP_1) | instid1(TRANS32_DEP_1)
	v_rsq_f64_e32 v[14:15], v[6:7]
	v_nop
	v_mul_f64_e32 v[16:17], v[6:7], v[14:15]
	v_mul_f64_e32 v[14:15], 0.5, v[14:15]
	s_delay_alu instid0(VALU_DEP_1) | instskip(NEXT) | instid1(VALU_DEP_1)
	v_fma_f64 v[18:19], -v[14:15], v[16:17], 0.5
	v_fmac_f64_e32 v[16:17], v[16:17], v[18:19]
	v_fmac_f64_e32 v[14:15], v[14:15], v[18:19]
	s_delay_alu instid0(VALU_DEP_2) | instskip(NEXT) | instid1(VALU_DEP_1)
	v_fma_f64 v[18:19], -v[16:17], v[16:17], v[6:7]
	v_fmac_f64_e32 v[16:17], v[18:19], v[14:15]
	s_delay_alu instid0(VALU_DEP_1) | instskip(NEXT) | instid1(VALU_DEP_1)
	v_fma_f64 v[18:19], -v[16:17], v[16:17], v[6:7]
	v_fmac_f64_e32 v[16:17], v[18:19], v[14:15]
	v_cndmask_b32_e64 v14, 0, 0xffffff80, vcc_lo
	v_cmp_class_f64_e64 vcc_lo, v[6:7], 0x260
	s_delay_alu instid0(VALU_DEP_2) | instskip(NEXT) | instid1(VALU_DEP_1)
	v_ldexp_f64 v[14:15], v[16:17], v14
	v_dual_cndmask_b32 v7, v15, v7 :: v_dual_cndmask_b32 v6, v14, v6
	s_delay_alu instid0(VALU_DEP_1) | instskip(NEXT) | instid1(VALU_DEP_1)
	v_add_f64_e32 v[2:3], v[2:3], v[6:7]
	v_mul_f64_e32 v[2:3], 0.5, v[2:3]
	s_delay_alu instid0(VALU_DEP_1) | instskip(SKIP_1) | instid1(VALU_DEP_1)
	v_cmp_gt_f64_e32 vcc_lo, 0x10000000, v[2:3]
	v_cndmask_b32_e64 v6, 0, 0x100, vcc_lo
	v_ldexp_f64 v[2:3], v[2:3], v6
	s_delay_alu instid0(VALU_DEP_1) | instskip(SKIP_1) | instid1(TRANS32_DEP_1)
	v_rsq_f64_e32 v[6:7], v[2:3]
	v_nop
	v_mul_f64_e32 v[14:15], v[2:3], v[6:7]
	v_mul_f64_e32 v[6:7], 0.5, v[6:7]
	s_delay_alu instid0(VALU_DEP_1) | instskip(NEXT) | instid1(VALU_DEP_1)
	v_fma_f64 v[16:17], -v[6:7], v[14:15], 0.5
	v_fmac_f64_e32 v[14:15], v[14:15], v[16:17]
	v_fmac_f64_e32 v[6:7], v[6:7], v[16:17]
	s_delay_alu instid0(VALU_DEP_2) | instskip(NEXT) | instid1(VALU_DEP_1)
	v_fma_f64 v[16:17], -v[14:15], v[14:15], v[2:3]
	v_fmac_f64_e32 v[14:15], v[16:17], v[6:7]
	s_delay_alu instid0(VALU_DEP_1) | instskip(NEXT) | instid1(VALU_DEP_1)
	v_fma_f64 v[16:17], -v[14:15], v[14:15], v[2:3]
	v_fmac_f64_e32 v[14:15], v[16:17], v[6:7]
	v_cndmask_b32_e64 v6, 0, 0xffffff80, vcc_lo
	v_cmp_class_f64_e64 vcc_lo, v[2:3], 0x260
	s_delay_alu instid0(VALU_DEP_2) | instskip(NEXT) | instid1(VALU_DEP_1)
	v_ldexp_f64 v[6:7], v[14:15], v6
	v_dual_cndmask_b32 v111, v7, v3 :: v_dual_cndmask_b32 v110, v6, v2
	s_delay_alu instid0(VALU_DEP_1) | instskip(SKIP_1) | instid1(VALU_DEP_2)
	v_div_scale_f64 v[6:7], null, v[110:111], v[110:111], v[4:5]
	v_div_scale_f64 v[18:19], vcc_lo, v[4:5], v[110:111], v[4:5]
	v_rcp_f64_e32 v[14:15], v[6:7]
	v_nop
	s_delay_alu instid0(TRANS32_DEP_1) | instskip(NEXT) | instid1(VALU_DEP_1)
	v_fma_f64 v[16:17], -v[6:7], v[14:15], 1.0
	v_fmac_f64_e32 v[14:15], v[14:15], v[16:17]
	s_delay_alu instid0(VALU_DEP_1) | instskip(NEXT) | instid1(VALU_DEP_1)
	v_fma_f64 v[16:17], -v[6:7], v[14:15], 1.0
	v_fmac_f64_e32 v[14:15], v[14:15], v[16:17]
	s_delay_alu instid0(VALU_DEP_1) | instskip(NEXT) | instid1(VALU_DEP_1)
	v_mul_f64_e32 v[16:17], v[18:19], v[14:15]
	v_fma_f64 v[6:7], -v[6:7], v[16:17], v[18:19]
	s_delay_alu instid0(VALU_DEP_1) | instskip(NEXT) | instid1(VALU_DEP_1)
	v_div_fmas_f64 v[6:7], v[6:7], v[14:15], v[16:17]
	v_div_fixup_f64 v[6:7], v[6:7], v[110:111], v[4:5]
	s_delay_alu instid0(VALU_DEP_1) | instskip(SKIP_2) | instid1(VALU_DEP_2)
	v_fma_f64 v[16:17], |v[6:7]|, -0.5, 0.5
	v_mul_f64_e32 v[4:5], v[6:7], v[6:7]
	v_cmp_ge_f64_e64 vcc_lo, |v[6:7]|, 0.5
	v_dual_cndmask_b32 v5, v5, v17 :: v_dual_cndmask_b32 v4, v4, v16
	s_delay_alu instid0(VALU_DEP_1) | instskip(SKIP_1) | instid1(VALU_DEP_1)
	v_fmaak_f64 v[14:15], s[4:5], v[4:5], 0xbf90a5a378a05eaf
	s_mov_b64 s[4:5], 0x3ffaf154eeb562d6
	v_fmaak_f64 v[14:15], v[4:5], v[14:15], 0x3f94052137024d6a
	s_delay_alu instid0(VALU_DEP_1) | instskip(NEXT) | instid1(VALU_DEP_1)
	v_fmaak_f64 v[14:15], v[4:5], v[14:15], 0x3f7ab3a098a70509
	v_fmaak_f64 v[14:15], v[4:5], v[14:15], 0x3f88ed60a300c8d2
	s_delay_alu instid0(VALU_DEP_1) | instskip(NEXT) | instid1(VALU_DEP_1)
	v_fmaak_f64 v[14:15], v[4:5], v[14:15], 0x3f8c6fa84b77012b
	;; [unrolled: 3-line block ×5, first 2 shown]
	v_mul_f64_e32 v[14:15], v[4:5], v[14:15]
	s_delay_alu instid0(VALU_DEP_1) | instskip(NEXT) | instid1(VALU_DEP_1)
	v_fma_f64 v[4:5], v[6:7], v[14:15], v[6:7]
	v_fma_f64 v[76:77], s[16:17], s[4:5], -v[4:5]
	s_and_saveexec_b32 s3, vcc_lo
	s_cbranch_execz .LBB1_20
; %bb.19:
	v_rsq_f64_e32 v[4:5], v[16:17]
	v_cmp_eq_f64_e32 vcc_lo, 0, v[16:17]
	s_delay_alu instid0(TRANS32_DEP_1) | instskip(SKIP_1) | instid1(VALU_DEP_1)
	v_mul_f64_e32 v[18:19], v[16:17], v[4:5]
	v_mul_f64_e32 v[4:5], 0.5, v[4:5]
	v_fma_f64 v[20:21], -v[4:5], v[18:19], 0.5
	s_delay_alu instid0(VALU_DEP_1) | instskip(SKIP_1) | instid1(VALU_DEP_2)
	v_fmac_f64_e32 v[18:19], v[18:19], v[20:21]
	v_fmac_f64_e32 v[4:5], v[4:5], v[20:21]
	v_fma_f64 v[20:21], -v[18:19], v[18:19], v[16:17]
	s_delay_alu instid0(VALU_DEP_1) | instskip(NEXT) | instid1(VALU_DEP_1)
	v_fmac_f64_e32 v[18:19], v[20:21], v[4:5]
	v_dual_cndmask_b32 v5, v19, v17 :: v_dual_cndmask_b32 v4, v18, v16
	s_delay_alu instid0(VALU_DEP_1) | instskip(SKIP_1) | instid1(VALU_DEP_2)
	v_add_f64_e32 v[18:19], v[4:5], v[4:5]
	v_mul_f64_e32 v[20:21], v[4:5], v[4:5]
	v_rcp_f64_e32 v[24:25], v[18:19]
	s_delay_alu instid0(VALU_DEP_1) | instskip(SKIP_1) | instid1(VALU_DEP_2)
	v_add_f64_e64 v[26:27], v[16:17], -v[20:21]
	v_fma_f64 v[30:31], v[4:5], v[4:5], -v[20:21]
	v_add_f64_e64 v[16:17], v[16:17], -v[26:27]
	s_delay_alu instid0(TRANS32_DEP_1) | instskip(NEXT) | instid1(VALU_DEP_2)
	v_fma_f64 v[28:29], -v[18:19], v[24:25], 1.0
	v_add_f64_e64 v[16:17], v[16:17], -v[20:21]
	s_delay_alu instid0(VALU_DEP_2) | instskip(NEXT) | instid1(VALU_DEP_2)
	v_fmac_f64_e32 v[24:25], v[28:29], v[24:25]
	v_add_f64_e64 v[16:17], v[16:17], -v[30:31]
	s_delay_alu instid0(VALU_DEP_2) | instskip(NEXT) | instid1(VALU_DEP_2)
	v_fma_f64 v[20:21], -v[18:19], v[24:25], 1.0
	v_add_f64_e32 v[16:17], v[26:27], v[16:17]
	s_delay_alu instid0(VALU_DEP_2) | instskip(NEXT) | instid1(VALU_DEP_1)
	v_fmac_f64_e32 v[24:25], v[20:21], v[24:25]
	v_mul_f64_e32 v[20:21], v[16:17], v[24:25]
	s_delay_alu instid0(VALU_DEP_1) | instskip(NEXT) | instid1(VALU_DEP_1)
	v_fma_f64 v[16:17], -v[18:19], v[20:21], v[16:17]
	v_fmac_f64_e32 v[20:21], v[16:17], v[24:25]
	s_delay_alu instid0(VALU_DEP_1) | instskip(NEXT) | instid1(VALU_DEP_2)
	v_cndmask_b32_e64 v17, v21, 0, vcc_lo
	v_cndmask_b32_e64 v16, v20, 0, vcc_lo
	v_cmp_gt_f64_e32 vcc_lo, 0, v[6:7]
	s_delay_alu instid0(VALU_DEP_2) | instskip(NEXT) | instid1(VALU_DEP_1)
	v_add_f64_e32 v[18:19], v[4:5], v[16:17]
	v_add_f64_e64 v[4:5], v[18:19], -v[4:5]
	s_delay_alu instid0(VALU_DEP_1) | instskip(SKIP_1) | instid1(VALU_DEP_2)
	v_add_f64_e64 v[4:5], v[16:17], -v[4:5]
	v_fma_f64 v[16:17], v[18:19], v[14:15], v[18:19]
	v_fmac_f64_e32 v[4:5], v[18:19], v[14:15]
	s_delay_alu instid0(VALU_DEP_2) | instskip(NEXT) | instid1(VALU_DEP_2)
	v_mul_f64_e32 v[14:15], -2.0, v[16:17]
	v_add_f64_e32 v[4:5], v[18:19], v[4:5]
	s_delay_alu instid0(VALU_DEP_2) | instskip(NEXT) | instid1(VALU_DEP_2)
	v_fmamk_f64 v[14:15], s[4:5], 0x3ffdd9ad336a0500, v[14:15]
	v_add_f64_e32 v[4:5], v[4:5], v[4:5]
	s_delay_alu instid0(VALU_DEP_1) | instskip(SKIP_1) | instid1(VALU_DEP_2)
	v_dual_cndmask_b32 v2, v5, v15 :: v_dual_cndmask_b32 v3, v4, v14
	v_cmp_neq_f64_e32 vcc_lo, -1.0, v[6:7]
	v_cndmask_b32_e32 v3, 0x54442d18, v3, vcc_lo
	s_delay_alu instid0(VALU_DEP_3) | instskip(SKIP_1) | instid1(VALU_DEP_2)
	v_cndmask_b32_e32 v2, 0x400921fb, v2, vcc_lo
	v_cmp_neq_f64_e32 vcc_lo, 1.0, v[6:7]
	v_dual_cndmask_b32 v77, 0, v2 :: v_dual_cndmask_b32 v76, 0, v3
.LBB1_20:
	s_or_b32 exec_lo, exec_lo, s3
	s_delay_alu instid0(VALU_DEP_1)
	v_cmp_ngt_f64_e64 s16, 0x41d00000, |v[76:77]|
	v_trig_preop_f64 v[62:63], |v[76:77]|, 0
	v_trig_preop_f64 v[60:61], |v[76:77]|, 1
	v_ldexp_f64 v[64:65], |v[76:77]|, 0xffffff80
	v_trig_preop_f64 v[26:27], |v[76:77]|, 2
	v_and_b32_e32 v90, 0x7fffffff, v77
                                        ; implicit-def: $vgpr81
                                        ; implicit-def: $vgpr14_vgpr15
                                        ; implicit-def: $vgpr16_vgpr17
	s_and_saveexec_b32 s3, s16
	s_delay_alu instid0(SALU_CYCLE_1)
	s_xor_b32 s3, exec_lo, s3
	s_cbranch_execz .LBB1_22
; %bb.21:
	v_cmp_le_f64_e64 vcc_lo, 0x7b000000, |v[76:77]|
	s_mov_b64 s[4:5], 0x3ff921fb54442d18
	v_dual_mov_b32 v40, 0 :: v_dual_cndmask_b32 v7, v90, v65
	v_cndmask_b32_e32 v6, v76, v64, vcc_lo
	s_delay_alu instid0(VALU_DEP_1) | instskip(SKIP_2) | instid1(VALU_DEP_3)
	v_mul_f64_e32 v[14:15], v[62:63], v[6:7]
	v_mul_f64_e32 v[16:17], v[60:61], v[6:7]
	;; [unrolled: 1-line block ×3, first 2 shown]
	v_fma_f64 v[18:19], v[62:63], v[6:7], -v[14:15]
	s_delay_alu instid0(VALU_DEP_3) | instskip(NEXT) | instid1(VALU_DEP_3)
	v_fma_f64 v[38:39], v[60:61], v[6:7], -v[16:17]
	v_fma_f64 v[6:7], v[26:27], v[6:7], -v[36:37]
	s_delay_alu instid0(VALU_DEP_3) | instskip(NEXT) | instid1(VALU_DEP_1)
	v_add_f64_e32 v[20:21], v[16:17], v[18:19]
	v_add_f64_e64 v[24:25], v[20:21], -v[16:17]
	v_add_f64_e32 v[30:31], v[14:15], v[20:21]
	s_delay_alu instid0(VALU_DEP_2) | instskip(SKIP_1) | instid1(VALU_DEP_3)
	v_add_f64_e64 v[28:29], v[20:21], -v[24:25]
	v_add_f64_e64 v[18:19], v[18:19], -v[24:25]
	v_ldexp_f64 v[24:25], v[30:31], -2
	v_add_f64_e64 v[14:15], v[30:31], -v[14:15]
	s_delay_alu instid0(VALU_DEP_4) | instskip(SKIP_1) | instid1(VALU_DEP_4)
	v_add_f64_e64 v[16:17], v[16:17], -v[28:29]
	v_add_f64_e32 v[28:29], v[36:37], v[38:39]
	v_cmp_neq_f64_e64 vcc_lo, 0x7ff00000, |v[24:25]|
	s_delay_alu instid0(VALU_DEP_4) | instskip(NEXT) | instid1(VALU_DEP_4)
	v_add_f64_e64 v[14:15], v[20:21], -v[14:15]
	v_add_f64_e32 v[16:17], v[18:19], v[16:17]
	v_fract_f64_e32 v[18:19], v[24:25]
	s_delay_alu instid0(VALU_DEP_2) | instskip(NEXT) | instid1(VALU_DEP_2)
	v_add_f64_e32 v[20:21], v[28:29], v[16:17]
	v_ldexp_f64 v[18:19], v[18:19], 2
	s_delay_alu instid0(VALU_DEP_1) | instskip(NEXT) | instid1(VALU_DEP_2)
	v_dual_add_f64 v[24:25], v[14:15], v[20:21] :: v_dual_cndmask_b32 v19, 0, v19, vcc_lo
	v_dual_add_f64 v[42:43], v[20:21], -v[28:29] :: v_dual_cndmask_b32 v18, 0, v18, vcc_lo
	s_delay_alu instid0(VALU_DEP_1) | instskip(SKIP_1) | instid1(VALU_DEP_3)
	v_add_f64_e32 v[30:31], v[24:25], v[18:19]
	v_add_f64_e64 v[14:15], v[24:25], -v[14:15]
	v_add_f64_e64 v[48:49], v[20:21], -v[42:43]
	;; [unrolled: 1-line block ×3, first 2 shown]
	s_delay_alu instid0(VALU_DEP_4) | instskip(SKIP_3) | instid1(VALU_DEP_3)
	v_cmp_gt_f64_e32 vcc_lo, 0, v[30:31]
	v_add_f64_e64 v[30:31], v[28:29], -v[36:37]
	v_add_f64_e64 v[14:15], v[20:21], -v[14:15]
	v_cndmask_b32_e64 v41, 0, 0x40100000, vcc_lo
	v_add_f64_e64 v[46:47], v[28:29], -v[30:31]
	v_add_f64_e64 v[30:31], v[38:39], -v[30:31]
	;; [unrolled: 1-line block ×3, first 2 shown]
	s_delay_alu instid0(VALU_DEP_4) | instskip(NEXT) | instid1(VALU_DEP_4)
	v_add_f64_e32 v[18:19], v[18:19], v[40:41]
	v_add_f64_e64 v[38:39], v[36:37], -v[46:47]
	s_delay_alu instid0(VALU_DEP_3) | instskip(NEXT) | instid1(VALU_DEP_3)
	v_add_f64_e32 v[16:17], v[16:17], v[28:29]
	v_add_f64_e32 v[44:45], v[24:25], v[18:19]
	s_delay_alu instid0(VALU_DEP_3) | instskip(NEXT) | instid1(VALU_DEP_2)
	v_add_f64_e32 v[30:31], v[30:31], v[38:39]
	v_cvt_i32_f64_e32 v2, v[44:45]
	s_delay_alu instid0(VALU_DEP_2) | instskip(NEXT) | instid1(VALU_DEP_2)
	v_add_f64_e32 v[16:17], v[30:31], v[16:17]
	v_cvt_f64_i32_e32 v[42:43], v2
	s_delay_alu instid0(VALU_DEP_2) | instskip(NEXT) | instid1(VALU_DEP_2)
	v_add_f64_e32 v[6:7], v[6:7], v[16:17]
	v_add_f64_e64 v[18:19], v[18:19], -v[42:43]
	s_delay_alu instid0(VALU_DEP_2) | instskip(NEXT) | instid1(VALU_DEP_2)
	v_add_f64_e32 v[6:7], v[14:15], v[6:7]
	v_add_f64_e32 v[28:29], v[24:25], v[18:19]
	s_delay_alu instid0(VALU_DEP_1) | instskip(SKIP_1) | instid1(VALU_DEP_2)
	v_add_f64_e64 v[16:17], v[28:29], -v[18:19]
	v_cmp_le_f64_e32 vcc_lo, 0.5, v[28:29]
	v_add_f64_e64 v[14:15], v[24:25], -v[16:17]
	v_cndmask_b32_e64 v41, 0, 0x3ff00000, vcc_lo
	v_add_co_ci_u32_e64 v81, null, 0, v2, vcc_lo
	s_delay_alu instid0(VALU_DEP_3) | instskip(NEXT) | instid1(VALU_DEP_3)
	v_add_f64_e32 v[6:7], v[6:7], v[14:15]
	v_add_f64_e64 v[14:15], v[28:29], -v[40:41]
	s_delay_alu instid0(VALU_DEP_1) | instskip(NEXT) | instid1(VALU_DEP_1)
	v_add_f64_e32 v[16:17], v[14:15], v[6:7]
	v_mul_f64_e32 v[18:19], 0x3ff921fb54442d18, v[16:17]
	v_add_f64_e64 v[14:15], v[16:17], -v[14:15]
	s_delay_alu instid0(VALU_DEP_2) | instskip(NEXT) | instid1(VALU_DEP_2)
	v_fma_f64 v[20:21], v[16:17], s[4:5], -v[18:19]
	v_add_f64_e64 v[6:7], v[6:7], -v[14:15]
	s_delay_alu instid0(VALU_DEP_2) | instskip(NEXT) | instid1(VALU_DEP_1)
	v_fmamk_f64 v[16:17], v[16:17], 0x3c91a62633145c07, v[20:21]
	v_fmac_f64_e32 v[16:17], 0x3ff921fb54442d18, v[6:7]
	s_delay_alu instid0(VALU_DEP_1) | instskip(NEXT) | instid1(VALU_DEP_1)
	v_add_f64_e32 v[14:15], v[18:19], v[16:17]
	v_add_f64_e64 v[6:7], v[14:15], -v[18:19]
	s_delay_alu instid0(VALU_DEP_1)
	v_add_f64_e64 v[16:17], v[16:17], -v[6:7]
	s_and_not1_saveexec_b32 s3, s3
	s_cbranch_execz .LBB1_24
	s_branch .LBB1_23
.LBB1_22:
	s_and_not1_saveexec_b32 s3, s3
	s_cbranch_execz .LBB1_24
.LBB1_23:
	s_mov_b64 s[4:5], 0x3fe45f306dc9c883
	s_delay_alu instid0(SALU_CYCLE_1) | instskip(SKIP_1) | instid1(VALU_DEP_1)
	v_mul_f64_e64 v[6:7], |v[76:77]|, s[4:5]
	s_mov_b64 s[4:5], 0xbff921fb54442d18
	v_rndne_f64_e32 v[6:7], v[6:7]
	s_delay_alu instid0(VALU_DEP_1) | instskip(SKIP_2) | instid1(VALU_DEP_3)
	v_fma_f64 v[14:15], v[6:7], s[4:5], |v[76:77]|
	v_mul_f64_e32 v[16:17], 0xbc91a62633145c00, v[6:7]
	v_cvt_i32_f64_e32 v81, v[6:7]
	v_fmamk_f64 v[24:25], v[6:7], 0xbc91a62633145c00, v[14:15]
	s_delay_alu instid0(VALU_DEP_3) | instskip(NEXT) | instid1(VALU_DEP_1)
	v_add_f64_e32 v[18:19], v[14:15], v[16:17]
	v_add_f64_e64 v[20:21], v[14:15], -v[18:19]
	s_delay_alu instid0(VALU_DEP_3) | instskip(NEXT) | instid1(VALU_DEP_2)
	v_add_f64_e64 v[14:15], v[18:19], -v[24:25]
	v_add_f64_e32 v[18:19], v[20:21], v[16:17]
	v_fmamk_f64 v[16:17], v[6:7], 0x3c91a62633145c00, v[16:17]
	s_delay_alu instid0(VALU_DEP_2) | instskip(NEXT) | instid1(VALU_DEP_1)
	v_add_f64_e32 v[14:15], v[14:15], v[18:19]
	v_add_f64_e64 v[14:15], v[14:15], -v[16:17]
	s_delay_alu instid0(VALU_DEP_1) | instskip(NEXT) | instid1(VALU_DEP_1)
	v_fmamk_f64 v[16:17], v[6:7], 0xb97b839a252049c0, v[14:15]
	v_add_f64_e32 v[14:15], v[24:25], v[16:17]
	s_delay_alu instid0(VALU_DEP_1) | instskip(NEXT) | instid1(VALU_DEP_1)
	v_add_f64_e64 v[18:19], v[14:15], -v[24:25]
	v_add_f64_e64 v[16:17], v[16:17], -v[18:19]
.LBB1_24:
	s_or_b32 exec_lo, exec_lo, s3
                                        ; implicit-def: $vgpr82
                                        ; implicit-def: $vgpr18_vgpr19
                                        ; implicit-def: $vgpr20_vgpr21
	s_and_saveexec_b32 s3, s16
	s_delay_alu instid0(SALU_CYCLE_1)
	s_xor_b32 s3, exec_lo, s3
	s_cbranch_execz .LBB1_28
; %bb.25:
	v_cmp_le_f64_e64 vcc_lo, 0x7b000000, |v[76:77]|
	s_mov_b64 s[4:5], 0x3ff921fb54442d18
	v_dual_cndmask_b32 v7, v90, v65 :: v_dual_cndmask_b32 v6, v76, v64
	s_delay_alu instid0(VALU_DEP_1) | instskip(SKIP_1) | instid1(VALU_DEP_2)
	v_mul_f64_e32 v[20:21], v[62:63], v[6:7]
	v_mul_f64_e32 v[18:19], v[60:61], v[6:7]
	v_fma_f64 v[24:25], v[62:63], v[6:7], -v[20:21]
	s_delay_alu instid0(VALU_DEP_1) | instskip(NEXT) | instid1(VALU_DEP_1)
	v_add_f64_e32 v[28:29], v[18:19], v[24:25]
	v_add_f64_e64 v[40:41], v[28:29], -v[18:19]
	v_add_f64_e32 v[30:31], v[20:21], v[28:29]
	s_delay_alu instid0(VALU_DEP_2) | instskip(SKIP_1) | instid1(VALU_DEP_3)
	v_add_f64_e64 v[24:25], v[24:25], -v[40:41]
	v_add_f64_e64 v[40:41], v[28:29], -v[40:41]
	v_ldexp_f64 v[36:37], v[30:31], -2
	v_add_f64_e64 v[20:21], v[30:31], -v[20:21]
	s_delay_alu instid0(VALU_DEP_3) | instskip(SKIP_1) | instid1(VALU_DEP_4)
	v_add_f64_e64 v[40:41], v[18:19], -v[40:41]
	v_fma_f64 v[18:19], v[60:61], v[6:7], -v[18:19]
	v_fract_f64_e32 v[38:39], v[36:37]
	v_cmp_neq_f64_e64 vcc_lo, 0x7ff00000, |v[36:37]|
	s_delay_alu instid0(VALU_DEP_4) | instskip(SKIP_1) | instid1(VALU_DEP_1)
	v_add_f64_e32 v[24:25], v[24:25], v[40:41]
	v_mul_f64_e32 v[40:41], v[26:27], v[6:7]
	v_add_f64_e32 v[42:43], v[40:41], v[18:19]
	v_fma_f64 v[6:7], v[26:27], v[6:7], -v[40:41]
	s_delay_alu instid0(VALU_DEP_2) | instskip(NEXT) | instid1(VALU_DEP_1)
	v_add_f64_e32 v[44:45], v[42:43], v[24:25]
	v_add_f64_e64 v[30:31], v[44:45], -v[42:43]
	s_delay_alu instid0(VALU_DEP_1) | instskip(SKIP_1) | instid1(VALU_DEP_1)
	v_add_f64_e64 v[24:25], v[24:25], -v[30:31]
	v_add_f64_e64 v[30:31], v[44:45], -v[30:31]
	;; [unrolled: 1-line block ×3, first 2 shown]
	s_delay_alu instid0(VALU_DEP_1) | instskip(SKIP_1) | instid1(VALU_DEP_1)
	v_add_f64_e32 v[24:25], v[24:25], v[30:31]
	v_add_f64_e64 v[30:31], v[42:43], -v[40:41]
	v_add_f64_e64 v[18:19], v[18:19], -v[30:31]
	;; [unrolled: 1-line block ×3, first 2 shown]
	s_delay_alu instid0(VALU_DEP_1) | instskip(NEXT) | instid1(VALU_DEP_1)
	v_add_f64_e64 v[30:31], v[40:41], -v[30:31]
	v_add_f64_e32 v[18:19], v[18:19], v[30:31]
	s_delay_alu instid0(VALU_DEP_1) | instskip(NEXT) | instid1(VALU_DEP_1)
	v_add_f64_e32 v[18:19], v[18:19], v[24:25]
	v_add_f64_e32 v[6:7], v[6:7], v[18:19]
	v_ldexp_f64 v[18:19], v[38:39], 2
	s_delay_alu instid0(VALU_DEP_1) | instskip(NEXT) | instid1(VALU_DEP_1)
	v_dual_add_f64 v[20:21], v[28:29], -v[20:21] :: v_dual_cndmask_b32 v19, 0, v19, vcc_lo
	v_dual_add_f64 v[28:29], v[20:21], v[44:45] :: v_dual_cndmask_b32 v18, 0, v18, vcc_lo
	s_delay_alu instid0(VALU_DEP_1) | instskip(NEXT) | instid1(VALU_DEP_1)
	v_add_f64_e64 v[20:21], v[28:29], -v[20:21]
	v_add_f64_e64 v[20:21], v[44:45], -v[20:21]
	s_delay_alu instid0(VALU_DEP_1) | instskip(NEXT) | instid1(VALU_DEP_4)
	v_add_f64_e32 v[6:7], v[20:21], v[6:7]
	v_add_f64_e32 v[20:21], v[28:29], v[18:19]
	s_delay_alu instid0(VALU_DEP_1) | instskip(SKIP_2) | instid1(VALU_DEP_1)
	v_cmp_gt_f64_e32 vcc_lo, 0, v[20:21]
	v_mov_b32_e32 v20, 0
	v_cndmask_b32_e64 v21, 0, 0x40100000, vcc_lo
	v_add_f64_e32 v[18:19], v[18:19], v[20:21]
	s_delay_alu instid0(VALU_DEP_1) | instskip(NEXT) | instid1(VALU_DEP_1)
	v_add_f64_e32 v[24:25], v[28:29], v[18:19]
	v_cvt_i32_f64_e32 v2, v[24:25]
	s_delay_alu instid0(VALU_DEP_1) | instskip(NEXT) | instid1(VALU_DEP_1)
	v_cvt_f64_i32_e32 v[24:25], v2
	v_add_f64_e64 v[18:19], v[18:19], -v[24:25]
	s_delay_alu instid0(VALU_DEP_1) | instskip(NEXT) | instid1(VALU_DEP_1)
	v_add_f64_e32 v[24:25], v[28:29], v[18:19]
	v_add_f64_e64 v[18:19], v[24:25], -v[18:19]
	v_cmp_le_f64_e32 vcc_lo, 0.5, v[24:25]
	s_delay_alu instid0(VALU_DEP_2) | instskip(SKIP_2) | instid1(VALU_DEP_3)
	v_add_f64_e64 v[18:19], v[28:29], -v[18:19]
	v_cndmask_b32_e64 v21, 0, 0x3ff00000, vcc_lo
	v_add_co_ci_u32_e64 v82, null, 0, v2, vcc_lo
	v_add_f64_e32 v[6:7], v[6:7], v[18:19]
	s_delay_alu instid0(VALU_DEP_3) | instskip(NEXT) | instid1(VALU_DEP_1)
	v_add_f64_e64 v[18:19], v[24:25], -v[20:21]
	v_add_f64_e32 v[20:21], v[18:19], v[6:7]
	s_delay_alu instid0(VALU_DEP_1) | instskip(SKIP_1) | instid1(VALU_DEP_2)
	v_add_f64_e64 v[18:19], v[20:21], -v[18:19]
	v_mul_f64_e32 v[24:25], 0x3ff921fb54442d18, v[20:21]
	v_add_f64_e64 v[6:7], v[6:7], -v[18:19]
	s_delay_alu instid0(VALU_DEP_2) | instskip(NEXT) | instid1(VALU_DEP_1)
	v_fma_f64 v[18:19], v[20:21], s[4:5], -v[24:25]
	v_fmamk_f64 v[20:21], v[20:21], 0x3c91a62633145c07, v[18:19]
	s_delay_alu instid0(VALU_DEP_1) | instskip(NEXT) | instid1(VALU_DEP_1)
	v_fmac_f64_e32 v[20:21], 0x3ff921fb54442d18, v[6:7]
	v_add_f64_e32 v[18:19], v[24:25], v[20:21]
	s_delay_alu instid0(VALU_DEP_1) | instskip(NEXT) | instid1(VALU_DEP_1)
	v_add_f64_e64 v[6:7], v[18:19], -v[24:25]
	v_add_f64_e64 v[20:21], v[20:21], -v[6:7]
	s_and_not1_saveexec_b32 s3, s3
	s_cbranch_execnz .LBB1_29
.LBB1_26:
	s_or_b32 exec_lo, exec_lo, s3
	s_delay_alu instid0(SALU_CYCLE_1)
	s_and_b32 vcc_lo, exec_lo, s10
	s_cbranch_vccz .LBB1_30
.LBB1_27:
	v_cmp_le_f64_e64 vcc_lo, 0x7b000000, |s[14:15]|
	s_and_b32 s3, s15, 0x7fffffff
	s_mov_b32 s4, 0
	s_mov_b64 s[18:19], 0x3ff921fb54442d18
	v_cndmask_b32_e32 v7, s3, v23, vcc_lo
	v_cndmask_b32_e32 v6, s14, v22, vcc_lo
	s_delay_alu instid0(VALU_DEP_1) | instskip(SKIP_1) | instid1(VALU_DEP_2)
	v_mul_f64_e32 v[24:25], v[12:13], v[6:7]
	v_mul_f64_e32 v[28:29], v[10:11], v[6:7]
	v_fma_f64 v[30:31], v[12:13], v[6:7], -v[24:25]
	s_delay_alu instid0(VALU_DEP_1) | instskip(NEXT) | instid1(VALU_DEP_1)
	v_add_f64_e32 v[36:37], v[28:29], v[30:31]
	v_add_f64_e64 v[38:39], v[36:37], -v[28:29]
	v_add_f64_e32 v[42:43], v[24:25], v[36:37]
	v_fma_f64 v[46:47], v[10:11], v[6:7], -v[28:29]
	v_mul_f64_e32 v[44:45], v[8:9], v[6:7]
	s_delay_alu instid0(VALU_DEP_4) | instskip(SKIP_2) | instid1(VALU_DEP_4)
	v_add_f64_e64 v[40:41], v[36:37], -v[38:39]
	v_add_f64_e64 v[30:31], v[30:31], -v[38:39]
	v_ldexp_f64 v[38:39], v[42:43], -2
	v_fma_f64 v[6:7], v[8:9], v[6:7], -v[44:45]
	s_delay_alu instid0(VALU_DEP_2) | instskip(SKIP_2) | instid1(VALU_DEP_2)
	v_cmp_neq_f64_e64 vcc_lo, 0x7ff00000, |v[38:39]|
	v_add_f64_e64 v[28:29], v[28:29], -v[40:41]
	v_add_f64_e32 v[40:41], v[44:45], v[46:47]
	v_add_f64_e32 v[28:29], v[30:31], v[28:29]
	v_fract_f64_e32 v[30:31], v[38:39]
	s_delay_alu instid0(VALU_DEP_1) | instskip(NEXT) | instid1(VALU_DEP_1)
	v_ldexp_f64 v[30:31], v[30:31], 2
	v_dual_add_f64 v[24:25], v[42:43], -v[24:25] :: v_dual_cndmask_b32 v30, 0, v30, vcc_lo
	s_delay_alu instid0(VALU_DEP_1) | instskip(NEXT) | instid1(VALU_DEP_3)
	v_add_f64_e64 v[24:25], v[36:37], -v[24:25]
	v_dual_add_f64 v[36:37], v[40:41], v[28:29] :: v_dual_cndmask_b32 v31, 0, v31, vcc_lo
	s_delay_alu instid0(VALU_DEP_1) | instskip(SKIP_1) | instid1(VALU_DEP_2)
	v_add_f64_e32 v[38:39], v[24:25], v[36:37]
	v_add_f64_e64 v[48:49], v[36:37], -v[40:41]
	v_add_f64_e32 v[42:43], v[38:39], v[30:31]
	s_delay_alu instid0(VALU_DEP_2) | instskip(SKIP_2) | instid1(VALU_DEP_4)
	v_add_f64_e64 v[54:55], v[36:37], -v[48:49]
	v_add_f64_e64 v[28:29], v[28:29], -v[48:49]
	;; [unrolled: 1-line block ×3, first 2 shown]
	v_cmp_gt_f64_e32 vcc_lo, 0, v[42:43]
	v_add_f64_e64 v[42:43], v[40:41], -v[44:45]
	s_delay_alu instid0(VALU_DEP_3) | instskip(SKIP_2) | instid1(VALU_DEP_2)
	v_add_f64_e64 v[24:25], v[36:37], -v[24:25]
	s_and_b32 s3, vcc_lo, exec_lo
	s_cselect_b32 s5, 0x40100000, 0
	v_add_f64_e64 v[52:53], v[40:41], -v[42:43]
	v_add_f64_e32 v[30:31], s[4:5], v[30:31]
	v_add_f64_e64 v[42:43], v[46:47], -v[42:43]
	v_add_f64_e64 v[40:41], v[40:41], -v[54:55]
	s_delay_alu instid0(VALU_DEP_4) | instskip(NEXT) | instid1(VALU_DEP_4)
	v_add_f64_e64 v[46:47], v[44:45], -v[52:53]
	v_add_f64_e32 v[50:51], v[38:39], v[30:31]
	s_delay_alu instid0(VALU_DEP_3) | instskip(NEXT) | instid1(VALU_DEP_3)
	v_add_f64_e32 v[28:29], v[28:29], v[40:41]
	v_add_f64_e32 v[42:43], v[42:43], v[46:47]
	s_delay_alu instid0(VALU_DEP_3) | instskip(NEXT) | instid1(VALU_DEP_2)
	v_cvt_i32_f64_e32 v2, v[50:51]
	v_add_f64_e32 v[28:29], v[42:43], v[28:29]
	s_delay_alu instid0(VALU_DEP_2) | instskip(NEXT) | instid1(VALU_DEP_2)
	v_cvt_f64_i32_e32 v[48:49], v2
	v_add_f64_e32 v[6:7], v[6:7], v[28:29]
	s_delay_alu instid0(VALU_DEP_2) | instskip(NEXT) | instid1(VALU_DEP_2)
	v_add_f64_e64 v[30:31], v[30:31], -v[48:49]
	v_add_f64_e32 v[6:7], v[24:25], v[6:7]
	s_delay_alu instid0(VALU_DEP_2) | instskip(NEXT) | instid1(VALU_DEP_1)
	v_add_f64_e32 v[40:41], v[38:39], v[30:31]
	v_add_f64_e64 v[28:29], v[40:41], -v[30:31]
	v_cmp_le_f64_e32 vcc_lo, 0.5, v[40:41]
	s_delay_alu instid0(VALU_DEP_2) | instskip(SKIP_3) | instid1(VALU_DEP_2)
	v_add_f64_e64 v[24:25], v[38:39], -v[28:29]
	s_and_b32 s3, vcc_lo, exec_lo
	s_cselect_b32 s5, 0x3ff00000, 0
	v_add_co_ci_u32_e64 v86, null, 0, v2, vcc_lo
	v_add_f64_e32 v[6:7], v[6:7], v[24:25]
	v_add_f64_e64 v[24:25], v[40:41], -s[4:5]
	s_delay_alu instid0(VALU_DEP_1) | instskip(NEXT) | instid1(VALU_DEP_1)
	v_add_f64_e32 v[28:29], v[24:25], v[6:7]
	v_mul_f64_e32 v[36:37], 0x3ff921fb54442d18, v[28:29]
	v_add_f64_e64 v[24:25], v[28:29], -v[24:25]
	s_delay_alu instid0(VALU_DEP_2) | instskip(NEXT) | instid1(VALU_DEP_2)
	v_fma_f64 v[30:31], v[28:29], s[18:19], -v[36:37]
	v_add_f64_e64 v[6:7], v[6:7], -v[24:25]
	s_delay_alu instid0(VALU_DEP_2) | instskip(NEXT) | instid1(VALU_DEP_1)
	v_fmamk_f64 v[24:25], v[28:29], 0x3c91a62633145c07, v[30:31]
	v_fmac_f64_e32 v[24:25], 0x3ff921fb54442d18, v[6:7]
	s_delay_alu instid0(VALU_DEP_1) | instskip(NEXT) | instid1(VALU_DEP_1)
	v_add_f64_e32 v[30:31], v[36:37], v[24:25]
	v_add_f64_e64 v[6:7], v[30:31], -v[36:37]
	s_delay_alu instid0(VALU_DEP_1)
	v_add_f64_e64 v[36:37], v[24:25], -v[6:7]
	s_cbranch_execz .LBB1_31
	s_branch .LBB1_32
.LBB1_28:
	s_and_not1_saveexec_b32 s3, s3
	s_cbranch_execz .LBB1_26
.LBB1_29:
	s_mov_b64 s[4:5], 0x3fe45f306dc9c883
	s_delay_alu instid0(SALU_CYCLE_1) | instskip(SKIP_1) | instid1(VALU_DEP_1)
	v_mul_f64_e64 v[6:7], |v[76:77]|, s[4:5]
	s_mov_b64 s[4:5], 0xbff921fb54442d18
	v_rndne_f64_e32 v[6:7], v[6:7]
	s_delay_alu instid0(VALU_DEP_1) | instskip(SKIP_2) | instid1(VALU_DEP_3)
	v_fma_f64 v[18:19], v[6:7], s[4:5], |v[76:77]|
	v_mul_f64_e32 v[20:21], 0xbc91a62633145c00, v[6:7]
	v_cvt_i32_f64_e32 v82, v[6:7]
	v_fmamk_f64 v[30:31], v[6:7], 0xbc91a62633145c00, v[18:19]
	s_delay_alu instid0(VALU_DEP_3) | instskip(NEXT) | instid1(VALU_DEP_1)
	v_add_f64_e32 v[24:25], v[18:19], v[20:21]
	v_add_f64_e64 v[28:29], v[18:19], -v[24:25]
	s_delay_alu instid0(VALU_DEP_3) | instskip(NEXT) | instid1(VALU_DEP_2)
	v_add_f64_e64 v[18:19], v[24:25], -v[30:31]
	v_add_f64_e32 v[24:25], v[28:29], v[20:21]
	v_fmamk_f64 v[20:21], v[6:7], 0x3c91a62633145c00, v[20:21]
	s_delay_alu instid0(VALU_DEP_2) | instskip(NEXT) | instid1(VALU_DEP_1)
	v_add_f64_e32 v[18:19], v[18:19], v[24:25]
	v_add_f64_e64 v[18:19], v[18:19], -v[20:21]
	s_delay_alu instid0(VALU_DEP_1) | instskip(NEXT) | instid1(VALU_DEP_1)
	v_fmamk_f64 v[20:21], v[6:7], 0xb97b839a252049c0, v[18:19]
	v_add_f64_e32 v[18:19], v[30:31], v[20:21]
	s_delay_alu instid0(VALU_DEP_1) | instskip(NEXT) | instid1(VALU_DEP_1)
	v_add_f64_e64 v[24:25], v[18:19], -v[30:31]
	v_add_f64_e64 v[20:21], v[20:21], -v[24:25]
	s_or_b32 exec_lo, exec_lo, s3
	s_delay_alu instid0(SALU_CYCLE_1)
	s_and_b32 vcc_lo, exec_lo, s10
	s_cbranch_vccnz .LBB1_27
.LBB1_30:
                                        ; implicit-def: $vgpr86
                                        ; implicit-def: $vgpr30_vgpr31
                                        ; implicit-def: $vgpr36_vgpr37
.LBB1_31:
	s_mov_b64 s[4:5], 0x3fe45f306dc9c883
	s_delay_alu instid0(SALU_CYCLE_1) | instskip(SKIP_1) | instid1(VALU_DEP_1)
	v_mul_f64_e64 v[6:7], |s[14:15]|, s[4:5]
	s_mov_b64 s[4:5], 0xbff921fb54442d18
	v_rndne_f64_e32 v[6:7], v[6:7]
	s_delay_alu instid0(VALU_DEP_1) | instskip(SKIP_2) | instid1(VALU_DEP_2)
	v_fma_f64 v[24:25], v[6:7], s[4:5], |s[14:15]|
	v_mul_f64_e32 v[28:29], 0xbc91a62633145c00, v[6:7]
	v_cvt_i32_f64_e32 v86, v[6:7]
	v_add_f64_e32 v[30:31], v[24:25], v[28:29]
	s_delay_alu instid0(VALU_DEP_1) | instskip(SKIP_1) | instid1(VALU_DEP_1)
	v_add_f64_e64 v[36:37], v[24:25], -v[30:31]
	v_fmamk_f64 v[24:25], v[6:7], 0xbc91a62633145c00, v[24:25]
	v_add_f64_e64 v[30:31], v[30:31], -v[24:25]
	s_delay_alu instid0(VALU_DEP_3) | instskip(SKIP_1) | instid1(VALU_DEP_2)
	v_add_f64_e32 v[36:37], v[36:37], v[28:29]
	v_fmamk_f64 v[28:29], v[6:7], 0x3c91a62633145c00, v[28:29]
	v_add_f64_e32 v[30:31], v[30:31], v[36:37]
	s_delay_alu instid0(VALU_DEP_1) | instskip(NEXT) | instid1(VALU_DEP_1)
	v_add_f64_e64 v[28:29], v[30:31], -v[28:29]
	v_fmamk_f64 v[28:29], v[6:7], 0xb97b839a252049c0, v[28:29]
	s_delay_alu instid0(VALU_DEP_1) | instskip(NEXT) | instid1(VALU_DEP_1)
	v_add_f64_e32 v[30:31], v[24:25], v[28:29]
	v_add_f64_e64 v[24:25], v[30:31], -v[24:25]
	s_delay_alu instid0(VALU_DEP_1)
	v_add_f64_e64 v[36:37], v[28:29], -v[24:25]
.LBB1_32:
	v_max_num_f64_e64 v[6:7], |v[34:35]|, |v[34:35]|
	v_max_num_f64_e64 v[24:25], |v[0:1]|, |v[0:1]|
	v_cmp_eq_f64_e64 s3, 0, v[34:35]
	s_mov_b64 s[4:5], 0x3eeba404b5e68a13
	s_mov_b64 s[18:19], 0x400921fb54442d18
	v_cmp_class_f64_e64 s11, v[34:35], 0x204
	v_cmp_class_f64_e64 s17, v[0:1], 0x204
	v_mov_b32_e32 v2, 0x7f3321d2
                                        ; implicit-def: $vgpr87
                                        ; implicit-def: $vgpr50_vgpr51
                                        ; implicit-def: $vgpr52_vgpr53
	v_ashrrev_i32_e32 v3, 31, v1
	s_delay_alu instid0(VALU_DEP_1) | instskip(SKIP_3) | instid1(VALU_DEP_1)
	v_and_b32_e32 v4, 0x400921fb, v3
	v_and_b32_e32 v3, 0x54442d18, v3
	v_max_num_f64_e32 v[28:29], v[24:25], v[6:7]
	v_min_num_f64_e32 v[6:7], v[24:25], v[6:7]
	v_div_scale_f64 v[24:25], null, v[28:29], v[28:29], v[6:7]
	v_div_scale_f64 v[42:43], vcc_lo, v[6:7], v[28:29], v[6:7]
	s_delay_alu instid0(VALU_DEP_2) | instskip(SKIP_1) | instid1(TRANS32_DEP_1)
	v_rcp_f64_e32 v[38:39], v[24:25]
	v_nop
	v_fma_f64 v[40:41], -v[24:25], v[38:39], 1.0
	s_delay_alu instid0(VALU_DEP_1) | instskip(NEXT) | instid1(VALU_DEP_1)
	v_fmac_f64_e32 v[38:39], v[38:39], v[40:41]
	v_fma_f64 v[40:41], -v[24:25], v[38:39], 1.0
	s_delay_alu instid0(VALU_DEP_1) | instskip(NEXT) | instid1(VALU_DEP_1)
	v_fmac_f64_e32 v[38:39], v[38:39], v[40:41]
	v_mul_f64_e32 v[40:41], v[42:43], v[38:39]
	s_delay_alu instid0(VALU_DEP_1) | instskip(NEXT) | instid1(VALU_DEP_1)
	v_fma_f64 v[24:25], -v[24:25], v[40:41], v[42:43]
	v_div_fmas_f64 v[24:25], v[24:25], v[38:39], v[40:41]
	v_cmp_lt_f64_e64 vcc_lo, |v[0:1]|, |v[34:35]|
	s_delay_alu instid0(VALU_DEP_2) | instskip(NEXT) | instid1(VALU_DEP_1)
	v_div_fixup_f64 v[6:7], v[24:25], v[28:29], v[6:7]
	v_mul_f64_e32 v[24:25], v[6:7], v[6:7]
	s_delay_alu instid0(VALU_DEP_1) | instskip(SKIP_1) | instid1(VALU_DEP_1)
	v_fmaak_f64 v[28:29], s[4:5], v[24:25], 0xbf23e260bd3237f4
	s_mov_b64 s[4:5], 0x3ff921fb54442d18
	v_fmaak_f64 v[28:29], v[24:25], v[28:29], 0x3f4b2bb069efb384
	s_delay_alu instid0(VALU_DEP_1) | instskip(NEXT) | instid1(VALU_DEP_1)
	v_fmaak_f64 v[28:29], v[24:25], v[28:29], 0xbf67952daf56de9b
	v_fmaak_f64 v[28:29], v[24:25], v[28:29], 0x3f7d6d43a595c56f
	s_delay_alu instid0(VALU_DEP_1) | instskip(NEXT) | instid1(VALU_DEP_1)
	v_fmaak_f64 v[28:29], v[24:25], v[28:29], 0xbf8c6ea4a57d9582
	;; [unrolled: 3-line block ×9, first 2 shown]
	v_mul_f64_e32 v[24:25], v[24:25], v[28:29]
	s_delay_alu instid0(VALU_DEP_1) | instskip(NEXT) | instid1(VALU_DEP_1)
	v_fmac_f64_e32 v[6:7], v[6:7], v[24:25]
	v_add_f64_e64 v[24:25], -v[6:7], s[4:5]
	s_delay_alu instid0(VALU_DEP_1) | instskip(SKIP_1) | instid1(VALU_DEP_2)
	v_dual_cndmask_b32 v7, v7, v25 :: v_dual_cndmask_b32 v6, v6, v24
	v_cmp_gt_i32_e32 vcc_lo, 0, v1
	v_add_f64_e64 v[24:25], -v[6:7], s[18:19]
	v_cndmask_b32_e32 v2, 0x54442d18, v2, vcc_lo
	s_delay_alu instid0(VALU_DEP_2) | instskip(NEXT) | instid1(VALU_DEP_3)
	v_cndmask_b32_e32 v5, v7, v25, vcc_lo
	v_dual_mov_b32 v7, 0x4002d97c :: v_dual_cndmask_b32 v6, v6, v24
	s_delay_alu instid0(VALU_DEP_2) | instskip(NEXT) | instid1(VALU_DEP_2)
	v_cndmask_b32_e64 v4, v5, v4, s3
	v_cndmask_b32_e32 v7, 0x3fe921fb, v7, vcc_lo
	s_delay_alu instid0(VALU_DEP_3) | instskip(SKIP_1) | instid1(VALU_DEP_2)
	v_cndmask_b32_e64 v3, v6, v3, s3
	s_and_b32 vcc_lo, s11, s17
	v_bfi_b32 v5, 0x7fffffff, v7, v35
	s_delay_alu instid0(VALU_DEP_1) | instskip(SKIP_1) | instid1(VALU_DEP_2)
	v_dual_cndmask_b32 v2, v3, v2 :: v_dual_cndmask_b32 v3, v4, v5
	v_cmp_o_f64_e32 vcc_lo, v[0:1], v[34:35]
	v_cndmask_b32_e32 v1, 0x7ff80000, v3, vcc_lo
	s_delay_alu instid0(VALU_DEP_3) | instskip(NEXT) | instid1(VALU_DEP_2)
	v_cndmask_b32_e32 v0, 0, v2, vcc_lo
	v_and_b32_e32 v80, 0x7fffffff, v1
	s_delay_alu instid0(VALU_DEP_2)
	v_cmp_ngt_f64_e64 s3, 0x41d00000, |v[0:1]|
	v_trig_preop_f64 v[28:29], |v[0:1]|, 0
	v_trig_preop_f64 v[24:25], |v[0:1]|, 1
	v_ldexp_f64 v[70:71], |v[0:1]|, 0xffffff80
	v_trig_preop_f64 v[6:7], |v[0:1]|, 2
	v_mov_b64_e32 v[114:115], v[0:1]
	s_and_saveexec_b32 s11, s3
	s_delay_alu instid0(SALU_CYCLE_1)
	s_xor_b32 s11, exec_lo, s11
	s_cbranch_execz .LBB1_36
; %bb.33:
	s_delay_alu instid0(VALU_DEP_1) | instskip(NEXT) | instid1(VALU_DEP_1)
	v_mov_b64_e32 v[0:1], v[114:115]
	v_cmp_le_f64_e64 vcc_lo, 0x7b000000, |v[0:1]|
	v_cndmask_b32_e32 v1, v80, v71, vcc_lo
	v_cndmask_b32_e32 v0, v0, v70, vcc_lo
	s_delay_alu instid0(VALU_DEP_1) | instskip(SKIP_1) | instid1(VALU_DEP_2)
	v_mul_f64_e32 v[40:41], v[28:29], v[0:1]
	v_mul_f64_e32 v[38:39], v[24:25], v[0:1]
	v_fma_f64 v[42:43], v[28:29], v[0:1], -v[40:41]
	s_delay_alu instid0(VALU_DEP_1) | instskip(NEXT) | instid1(VALU_DEP_1)
	v_add_f64_e32 v[44:45], v[38:39], v[42:43]
	v_add_f64_e64 v[52:53], v[44:45], -v[38:39]
	v_add_f64_e32 v[46:47], v[40:41], v[44:45]
	s_delay_alu instid0(VALU_DEP_2) | instskip(SKIP_1) | instid1(VALU_DEP_3)
	v_add_f64_e64 v[42:43], v[42:43], -v[52:53]
	v_add_f64_e64 v[52:53], v[44:45], -v[52:53]
	v_ldexp_f64 v[48:49], v[46:47], -2
	v_add_f64_e64 v[40:41], v[46:47], -v[40:41]
	s_delay_alu instid0(VALU_DEP_3) | instskip(SKIP_1) | instid1(VALU_DEP_3)
	v_add_f64_e64 v[52:53], v[38:39], -v[52:53]
	v_fma_f64 v[38:39], v[24:25], v[0:1], -v[38:39]
	v_add_f64_e64 v[40:41], v[44:45], -v[40:41]
	v_fract_f64_e32 v[50:51], v[48:49]
	v_cmp_neq_f64_e64 vcc_lo, 0x7ff00000, |v[48:49]|
	v_add_f64_e32 v[42:43], v[42:43], v[52:53]
	v_mul_f64_e32 v[52:53], v[6:7], v[0:1]
	s_delay_alu instid0(VALU_DEP_1) | instskip(SKIP_1) | instid1(VALU_DEP_2)
	v_add_f64_e32 v[54:55], v[52:53], v[38:39]
	v_fma_f64 v[0:1], v[6:7], v[0:1], -v[52:53]
	v_add_f64_e32 v[56:57], v[54:55], v[42:43]
	s_delay_alu instid0(VALU_DEP_1) | instskip(SKIP_1) | instid1(VALU_DEP_2)
	v_add_f64_e64 v[46:47], v[56:57], -v[54:55]
	v_add_f64_e32 v[44:45], v[40:41], v[56:57]
	v_add_f64_e64 v[42:43], v[42:43], -v[46:47]
	v_add_f64_e64 v[46:47], v[56:57], -v[46:47]
	s_delay_alu instid0(VALU_DEP_3) | instskip(NEXT) | instid1(VALU_DEP_2)
	v_add_f64_e64 v[40:41], v[44:45], -v[40:41]
	v_add_f64_e64 v[46:47], v[54:55], -v[46:47]
	s_delay_alu instid0(VALU_DEP_2) | instskip(NEXT) | instid1(VALU_DEP_2)
	v_add_f64_e64 v[40:41], v[56:57], -v[40:41]
	v_add_f64_e32 v[42:43], v[42:43], v[46:47]
	v_add_f64_e64 v[46:47], v[54:55], -v[52:53]
	s_delay_alu instid0(VALU_DEP_1) | instskip(SKIP_1) | instid1(VALU_DEP_1)
	v_add_f64_e64 v[38:39], v[38:39], -v[46:47]
	v_add_f64_e64 v[46:47], v[54:55], -v[46:47]
	;; [unrolled: 1-line block ×3, first 2 shown]
	s_delay_alu instid0(VALU_DEP_1) | instskip(NEXT) | instid1(VALU_DEP_1)
	v_add_f64_e32 v[38:39], v[38:39], v[46:47]
	v_add_f64_e32 v[38:39], v[38:39], v[42:43]
	s_delay_alu instid0(VALU_DEP_1) | instskip(SKIP_1) | instid1(VALU_DEP_1)
	v_add_f64_e32 v[0:1], v[0:1], v[38:39]
	v_ldexp_f64 v[38:39], v[50:51], 2
	v_dual_add_f64 v[0:1], v[40:41], v[0:1] :: v_dual_cndmask_b32 v39, 0, v39, vcc_lo
	s_delay_alu instid0(VALU_DEP_2) | instskip(NEXT) | instid1(VALU_DEP_1)
	v_cndmask_b32_e32 v38, 0, v38, vcc_lo
	v_add_f64_e32 v[40:41], v[44:45], v[38:39]
	s_delay_alu instid0(VALU_DEP_1) | instskip(SKIP_2) | instid1(VALU_DEP_1)
	v_cmp_gt_f64_e32 vcc_lo, 0, v[40:41]
	v_mov_b32_e32 v40, 0
	v_cndmask_b32_e64 v41, 0, 0x40100000, vcc_lo
	v_add_f64_e32 v[38:39], v[38:39], v[40:41]
	s_delay_alu instid0(VALU_DEP_1) | instskip(NEXT) | instid1(VALU_DEP_1)
	v_add_f64_e32 v[42:43], v[44:45], v[38:39]
	v_cvt_i32_f64_e32 v2, v[42:43]
	s_delay_alu instid0(VALU_DEP_1) | instskip(NEXT) | instid1(VALU_DEP_1)
	v_cvt_f64_i32_e32 v[42:43], v2
	v_add_f64_e64 v[38:39], v[38:39], -v[42:43]
	s_delay_alu instid0(VALU_DEP_1) | instskip(NEXT) | instid1(VALU_DEP_1)
	v_add_f64_e32 v[42:43], v[44:45], v[38:39]
	v_add_f64_e64 v[38:39], v[42:43], -v[38:39]
	v_cmp_le_f64_e32 vcc_lo, 0.5, v[42:43]
	s_delay_alu instid0(VALU_DEP_2) | instskip(SKIP_2) | instid1(VALU_DEP_3)
	v_add_f64_e64 v[38:39], v[44:45], -v[38:39]
	v_cndmask_b32_e64 v41, 0, 0x3ff00000, vcc_lo
	v_add_co_ci_u32_e64 v87, null, 0, v2, vcc_lo
	v_add_f64_e32 v[0:1], v[0:1], v[38:39]
	s_delay_alu instid0(VALU_DEP_3) | instskip(NEXT) | instid1(VALU_DEP_1)
	v_add_f64_e64 v[38:39], v[42:43], -v[40:41]
	v_add_f64_e32 v[40:41], v[38:39], v[0:1]
	s_delay_alu instid0(VALU_DEP_1) | instskip(NEXT) | instid1(VALU_DEP_1)
	v_add_f64_e64 v[38:39], v[40:41], -v[38:39]
	v_add_f64_e64 v[0:1], v[0:1], -v[38:39]
	v_mul_f64_e32 v[38:39], 0x3ff921fb54442d18, v[40:41]
	s_delay_alu instid0(VALU_DEP_1) | instskip(NEXT) | instid1(VALU_DEP_1)
	v_fma_f64 v[42:43], v[40:41], s[4:5], -v[38:39]
	v_fmamk_f64 v[40:41], v[40:41], 0x3c91a62633145c07, v[42:43]
	s_delay_alu instid0(VALU_DEP_1) | instskip(NEXT) | instid1(VALU_DEP_1)
	v_fmac_f64_e32 v[40:41], 0x3ff921fb54442d18, v[0:1]
	v_add_f64_e32 v[50:51], v[38:39], v[40:41]
	s_delay_alu instid0(VALU_DEP_1) | instskip(NEXT) | instid1(VALU_DEP_1)
	v_add_f64_e64 v[0:1], v[50:51], -v[38:39]
	v_add_f64_e64 v[52:53], v[40:41], -v[0:1]
	s_and_not1_saveexec_b32 s4, s11
	s_cbranch_execnz .LBB1_37
.LBB1_34:
	s_or_b32 exec_lo, exec_lo, s4
	s_delay_alu instid0(SALU_CYCLE_1)
	s_and_b32 vcc_lo, exec_lo, s10
	s_cbranch_vccz .LBB1_38
.LBB1_35:
	v_cmp_le_f64_e64 vcc_lo, 0x7b000000, |s[14:15]|
	s_and_b32 s4, s15, 0x7fffffff
	s_mov_b64 s[18:19], 0x3ff921fb54442d18
	v_cndmask_b32_e32 v1, s4, v23, vcc_lo
	v_cndmask_b32_e32 v0, s14, v22, vcc_lo
	s_mov_b32 s4, 0
	s_delay_alu instid0(VALU_DEP_1) | instskip(SKIP_1) | instid1(VALU_DEP_2)
	v_mul_f64_e32 v[38:39], v[12:13], v[0:1]
	v_mul_f64_e32 v[40:41], v[10:11], v[0:1]
	v_fma_f64 v[42:43], v[12:13], v[0:1], -v[38:39]
	s_delay_alu instid0(VALU_DEP_1) | instskip(NEXT) | instid1(VALU_DEP_1)
	v_add_f64_e32 v[44:45], v[40:41], v[42:43]
	v_add_f64_e64 v[46:47], v[44:45], -v[40:41]
	v_add_f64_e32 v[54:55], v[38:39], v[44:45]
	v_fma_f64 v[58:59], v[10:11], v[0:1], -v[40:41]
	v_mul_f64_e32 v[56:57], v[8:9], v[0:1]
	s_delay_alu instid0(VALU_DEP_4) | instskip(SKIP_2) | instid1(VALU_DEP_4)
	v_add_f64_e64 v[48:49], v[44:45], -v[46:47]
	v_add_f64_e64 v[42:43], v[42:43], -v[46:47]
	v_ldexp_f64 v[46:47], v[54:55], -2
	v_fma_f64 v[0:1], v[8:9], v[0:1], -v[56:57]
	s_delay_alu instid0(VALU_DEP_4) | instskip(SKIP_1) | instid1(VALU_DEP_4)
	v_add_f64_e64 v[40:41], v[40:41], -v[48:49]
	v_add_f64_e32 v[48:49], v[56:57], v[58:59]
	v_cmp_neq_f64_e64 vcc_lo, 0x7ff00000, |v[46:47]|
	s_delay_alu instid0(VALU_DEP_3) | instskip(SKIP_1) | instid1(VALU_DEP_1)
	v_add_f64_e32 v[40:41], v[42:43], v[40:41]
	v_fract_f64_e32 v[42:43], v[46:47]
	v_ldexp_f64 v[42:43], v[42:43], 2
	s_delay_alu instid0(VALU_DEP_1) | instskip(SKIP_1) | instid1(VALU_DEP_3)
	v_cndmask_b32_e32 v43, 0, v43, vcc_lo
	v_add_f64_e64 v[38:39], v[54:55], -v[38:39]
	v_cndmask_b32_e32 v42, 0, v42, vcc_lo
	s_delay_alu instid0(VALU_DEP_2) | instskip(SKIP_1) | instid1(VALU_DEP_1)
	v_add_f64_e64 v[38:39], v[44:45], -v[38:39]
	v_add_f64_e32 v[44:45], v[48:49], v[40:41]
	v_add_f64_e32 v[46:47], v[38:39], v[44:45]
	v_add_f64_e64 v[66:67], v[44:45], -v[48:49]
	s_delay_alu instid0(VALU_DEP_2) | instskip(NEXT) | instid1(VALU_DEP_2)
	v_add_f64_e32 v[54:55], v[46:47], v[42:43]
	v_add_f64_e64 v[74:75], v[44:45], -v[66:67]
	v_add_f64_e64 v[40:41], v[40:41], -v[66:67]
	;; [unrolled: 1-line block ×3, first 2 shown]
	s_delay_alu instid0(VALU_DEP_4) | instskip(SKIP_1) | instid1(VALU_DEP_3)
	v_cmp_gt_f64_e32 vcc_lo, 0, v[54:55]
	v_add_f64_e64 v[54:55], v[48:49], -v[56:57]
	v_add_f64_e64 v[38:39], v[44:45], -v[38:39]
	s_and_b32 s5, vcc_lo, exec_lo
	s_cselect_b32 s5, 0x40100000, 0
	s_delay_alu instid0(VALU_DEP_2) | instskip(SKIP_3) | instid1(VALU_DEP_4)
	v_add_f64_e64 v[72:73], v[48:49], -v[54:55]
	v_add_f64_e32 v[42:43], s[4:5], v[42:43]
	v_add_f64_e64 v[54:55], v[58:59], -v[54:55]
	v_add_f64_e64 v[48:49], v[48:49], -v[74:75]
	;; [unrolled: 1-line block ×3, first 2 shown]
	s_delay_alu instid0(VALU_DEP_4) | instskip(NEXT) | instid1(VALU_DEP_3)
	v_add_f64_e32 v[68:69], v[46:47], v[42:43]
	v_add_f64_e32 v[40:41], v[40:41], v[48:49]
	s_delay_alu instid0(VALU_DEP_3) | instskip(NEXT) | instid1(VALU_DEP_3)
	v_add_f64_e32 v[54:55], v[54:55], v[58:59]
	v_cvt_i32_f64_e32 v2, v[68:69]
	s_delay_alu instid0(VALU_DEP_2) | instskip(NEXT) | instid1(VALU_DEP_2)
	v_add_f64_e32 v[40:41], v[54:55], v[40:41]
	v_cvt_f64_i32_e32 v[66:67], v2
	s_delay_alu instid0(VALU_DEP_2) | instskip(NEXT) | instid1(VALU_DEP_2)
	v_add_f64_e32 v[0:1], v[0:1], v[40:41]
	v_add_f64_e64 v[42:43], v[42:43], -v[66:67]
	s_delay_alu instid0(VALU_DEP_2) | instskip(NEXT) | instid1(VALU_DEP_2)
	v_add_f64_e32 v[0:1], v[38:39], v[0:1]
	v_add_f64_e32 v[48:49], v[46:47], v[42:43]
	s_delay_alu instid0(VALU_DEP_1) | instskip(SKIP_1) | instid1(VALU_DEP_2)
	v_add_f64_e64 v[40:41], v[48:49], -v[42:43]
	v_cmp_le_f64_e32 vcc_lo, 0.5, v[48:49]
	v_add_f64_e64 v[38:39], v[46:47], -v[40:41]
	s_and_b32 s5, vcc_lo, exec_lo
	s_cselect_b32 s5, 0x3ff00000, 0
	v_add_co_ci_u32_e64 v83, null, 0, v2, vcc_lo
	s_delay_alu instid0(VALU_DEP_2) | instskip(SKIP_1) | instid1(VALU_DEP_1)
	v_add_f64_e32 v[0:1], v[0:1], v[38:39]
	v_add_f64_e64 v[38:39], v[48:49], -s[4:5]
	v_add_f64_e32 v[40:41], v[38:39], v[0:1]
	s_delay_alu instid0(VALU_DEP_1) | instskip(SKIP_1) | instid1(VALU_DEP_2)
	v_mul_f64_e32 v[42:43], 0x3ff921fb54442d18, v[40:41]
	v_add_f64_e64 v[38:39], v[40:41], -v[38:39]
	v_fma_f64 v[44:45], v[40:41], s[18:19], -v[42:43]
	s_delay_alu instid0(VALU_DEP_2) | instskip(NEXT) | instid1(VALU_DEP_2)
	v_add_f64_e64 v[0:1], v[0:1], -v[38:39]
	v_fmamk_f64 v[40:41], v[40:41], 0x3c91a62633145c07, v[44:45]
	s_delay_alu instid0(VALU_DEP_1) | instskip(NEXT) | instid1(VALU_DEP_1)
	v_fmac_f64_e32 v[40:41], 0x3ff921fb54442d18, v[0:1]
	v_add_f64_e32 v[38:39], v[42:43], v[40:41]
	s_delay_alu instid0(VALU_DEP_1) | instskip(NEXT) | instid1(VALU_DEP_1)
	v_add_f64_e64 v[0:1], v[38:39], -v[42:43]
	v_add_f64_e64 v[40:41], v[40:41], -v[0:1]
	s_cbranch_execz .LBB1_39
	s_branch .LBB1_40
.LBB1_36:
	s_and_not1_saveexec_b32 s4, s11
	s_cbranch_execz .LBB1_34
.LBB1_37:
	s_delay_alu instid0(VALU_DEP_1)
	v_mov_b64_e32 v[2:3], v[114:115]
	s_mov_b64 s[18:19], 0x3fe45f306dc9c883
	s_delay_alu instid0(VALU_DEP_1) | instid1(SALU_CYCLE_1)
	v_mul_f64_e64 v[0:1], |v[2:3]|, s[18:19]
	s_mov_b64 s[18:19], 0xbff921fb54442d18
	s_delay_alu instid0(VALU_DEP_1) | instskip(NEXT) | instid1(VALU_DEP_1)
	v_rndne_f64_e32 v[0:1], v[0:1]
	v_fma_f64 v[38:39], v[0:1], s[18:19], |v[2:3]|
	v_mul_f64_e32 v[40:41], 0xbc91a62633145c00, v[0:1]
	v_cvt_i32_f64_e32 v87, v[0:1]
	s_delay_alu instid0(VALU_DEP_2) | instskip(NEXT) | instid1(VALU_DEP_1)
	v_add_f64_e32 v[42:43], v[38:39], v[40:41]
	v_add_f64_e64 v[44:45], v[38:39], -v[42:43]
	v_fmamk_f64 v[38:39], v[0:1], 0xbc91a62633145c00, v[38:39]
	s_delay_alu instid0(VALU_DEP_1) | instskip(NEXT) | instid1(VALU_DEP_3)
	v_add_f64_e64 v[42:43], v[42:43], -v[38:39]
	v_add_f64_e32 v[44:45], v[44:45], v[40:41]
	v_fmamk_f64 v[40:41], v[0:1], 0x3c91a62633145c00, v[40:41]
	s_delay_alu instid0(VALU_DEP_2) | instskip(NEXT) | instid1(VALU_DEP_1)
	v_add_f64_e32 v[42:43], v[42:43], v[44:45]
	v_add_f64_e64 v[40:41], v[42:43], -v[40:41]
	s_delay_alu instid0(VALU_DEP_1) | instskip(NEXT) | instid1(VALU_DEP_1)
	v_fmamk_f64 v[40:41], v[0:1], 0xb97b839a252049c0, v[40:41]
	v_add_f64_e32 v[50:51], v[38:39], v[40:41]
	s_delay_alu instid0(VALU_DEP_1) | instskip(NEXT) | instid1(VALU_DEP_1)
	v_add_f64_e64 v[38:39], v[50:51], -v[38:39]
	v_add_f64_e64 v[52:53], v[40:41], -v[38:39]
	s_or_b32 exec_lo, exec_lo, s4
	s_delay_alu instid0(SALU_CYCLE_1)
	s_and_b32 vcc_lo, exec_lo, s10
	s_cbranch_vccnz .LBB1_35
.LBB1_38:
                                        ; implicit-def: $vgpr83
                                        ; implicit-def: $vgpr38_vgpr39
                                        ; implicit-def: $vgpr40_vgpr41
.LBB1_39:
	s_mov_b64 s[4:5], 0x3fe45f306dc9c883
	s_delay_alu instid0(SALU_CYCLE_1) | instskip(SKIP_1) | instid1(VALU_DEP_1)
	v_mul_f64_e64 v[0:1], |s[14:15]|, s[4:5]
	s_mov_b64 s[4:5], 0xbff921fb54442d18
	v_rndne_f64_e32 v[0:1], v[0:1]
	s_delay_alu instid0(VALU_DEP_1) | instskip(SKIP_2) | instid1(VALU_DEP_3)
	v_fma_f64 v[38:39], v[0:1], s[4:5], |s[14:15]|
	v_mul_f64_e32 v[40:41], 0xbc91a62633145c00, v[0:1]
	v_cvt_i32_f64_e32 v83, v[0:1]
	v_fmamk_f64 v[46:47], v[0:1], 0xbc91a62633145c00, v[38:39]
	s_delay_alu instid0(VALU_DEP_3) | instskip(NEXT) | instid1(VALU_DEP_1)
	v_add_f64_e32 v[42:43], v[38:39], v[40:41]
	v_add_f64_e64 v[44:45], v[38:39], -v[42:43]
	s_delay_alu instid0(VALU_DEP_3) | instskip(NEXT) | instid1(VALU_DEP_2)
	v_add_f64_e64 v[38:39], v[42:43], -v[46:47]
	v_add_f64_e32 v[42:43], v[44:45], v[40:41]
	v_fmamk_f64 v[40:41], v[0:1], 0x3c91a62633145c00, v[40:41]
	s_delay_alu instid0(VALU_DEP_2) | instskip(NEXT) | instid1(VALU_DEP_1)
	v_add_f64_e32 v[38:39], v[38:39], v[42:43]
	v_add_f64_e64 v[38:39], v[38:39], -v[40:41]
	s_delay_alu instid0(VALU_DEP_1) | instskip(NEXT) | instid1(VALU_DEP_1)
	v_fmamk_f64 v[40:41], v[0:1], 0xb97b839a252049c0, v[38:39]
	v_add_f64_e32 v[38:39], v[46:47], v[40:41]
	s_delay_alu instid0(VALU_DEP_1) | instskip(NEXT) | instid1(VALU_DEP_1)
	v_add_f64_e64 v[42:43], v[38:39], -v[46:47]
	v_add_f64_e64 v[40:41], v[40:41], -v[42:43]
.LBB1_40:
                                        ; implicit-def: $vgpr84
                                        ; implicit-def: $vgpr42_vgpr43
                                        ; implicit-def: $vgpr44_vgpr45
	s_mov_b32 s4, exec_lo
	v_mov_b64_e32 v[112:113], v[76:77]
	s_and_b32 s5, s4, s16
	s_delay_alu instid0(SALU_CYCLE_1)
	s_xor_b32 s4, s5, s4
	s_mov_b32 exec_lo, s5
	s_cbranch_execz .LBB1_42
; %bb.41:
	v_cmp_le_f64_e64 vcc_lo, 0x7b000000, |v[76:77]|
	s_mov_b64 s[18:19], 0x3ff921fb54442d18
	v_dual_mov_b32 v72, 0 :: v_dual_cndmask_b32 v1, v90, v65
	v_cndmask_b32_e32 v0, v76, v64, vcc_lo
	s_delay_alu instid0(VALU_DEP_1) | instskip(SKIP_2) | instid1(VALU_DEP_3)
	v_mul_f64_e32 v[42:43], v[62:63], v[0:1]
	v_mul_f64_e32 v[44:45], v[60:61], v[0:1]
	v_mul_f64_e32 v[66:67], v[26:27], v[0:1]
	v_fma_f64 v[46:47], v[62:63], v[0:1], -v[42:43]
	s_delay_alu instid0(VALU_DEP_3) | instskip(NEXT) | instid1(VALU_DEP_3)
	v_fma_f64 v[68:69], v[60:61], v[0:1], -v[44:45]
	v_fma_f64 v[0:1], v[26:27], v[0:1], -v[66:67]
	s_delay_alu instid0(VALU_DEP_3) | instskip(NEXT) | instid1(VALU_DEP_1)
	v_add_f64_e32 v[48:49], v[44:45], v[46:47]
	v_add_f64_e64 v[54:55], v[48:49], -v[44:45]
	v_add_f64_e32 v[58:59], v[42:43], v[48:49]
	s_delay_alu instid0(VALU_DEP_2) | instskip(SKIP_1) | instid1(VALU_DEP_3)
	v_add_f64_e64 v[56:57], v[48:49], -v[54:55]
	v_add_f64_e64 v[46:47], v[46:47], -v[54:55]
	v_ldexp_f64 v[54:55], v[58:59], -2
	s_delay_alu instid0(VALU_DEP_3) | instskip(SKIP_1) | instid1(VALU_DEP_3)
	v_add_f64_e64 v[44:45], v[44:45], -v[56:57]
	v_add_f64_e32 v[56:57], v[66:67], v[68:69]
	v_cmp_neq_f64_e64 vcc_lo, 0x7ff00000, |v[54:55]|
	s_delay_alu instid0(VALU_DEP_3) | instskip(SKIP_1) | instid1(VALU_DEP_1)
	v_add_f64_e32 v[44:45], v[46:47], v[44:45]
	v_fract_f64_e32 v[46:47], v[54:55]
	v_ldexp_f64 v[46:47], v[46:47], 2
	s_delay_alu instid0(VALU_DEP_1) | instskip(SKIP_1) | instid1(VALU_DEP_3)
	v_cndmask_b32_e32 v47, 0, v47, vcc_lo
	v_add_f64_e64 v[42:43], v[58:59], -v[42:43]
	v_cndmask_b32_e32 v46, 0, v46, vcc_lo
	s_delay_alu instid0(VALU_DEP_2) | instskip(SKIP_1) | instid1(VALU_DEP_1)
	v_add_f64_e64 v[42:43], v[48:49], -v[42:43]
	v_add_f64_e32 v[48:49], v[56:57], v[44:45]
	v_add_f64_e32 v[54:55], v[42:43], v[48:49]
	v_add_f64_e64 v[74:75], v[48:49], -v[56:57]
	s_delay_alu instid0(VALU_DEP_2) | instskip(NEXT) | instid1(VALU_DEP_2)
	v_add_f64_e32 v[58:59], v[54:55], v[46:47]
	v_add_f64_e64 v[88:89], v[48:49], -v[74:75]
	v_add_f64_e64 v[44:45], v[44:45], -v[74:75]
	;; [unrolled: 1-line block ×3, first 2 shown]
	s_delay_alu instid0(VALU_DEP_4) | instskip(SKIP_1) | instid1(VALU_DEP_3)
	v_cmp_gt_f64_e32 vcc_lo, 0, v[58:59]
	v_add_f64_e64 v[58:59], v[56:57], -v[66:67]
	v_add_f64_e64 v[42:43], v[48:49], -v[42:43]
	v_cndmask_b32_e64 v73, 0, 0x40100000, vcc_lo
	s_delay_alu instid0(VALU_DEP_3) | instskip(SKIP_2) | instid1(VALU_DEP_4)
	v_add_f64_e64 v[84:85], v[56:57], -v[58:59]
	v_add_f64_e64 v[58:59], v[68:69], -v[58:59]
	;; [unrolled: 1-line block ×3, first 2 shown]
	v_add_f64_e32 v[46:47], v[46:47], v[72:73]
	s_delay_alu instid0(VALU_DEP_4) | instskip(NEXT) | instid1(VALU_DEP_3)
	v_add_f64_e64 v[68:69], v[66:67], -v[84:85]
	v_add_f64_e32 v[44:45], v[44:45], v[56:57]
	s_delay_alu instid0(VALU_DEP_3) | instskip(NEXT) | instid1(VALU_DEP_3)
	v_add_f64_e32 v[76:77], v[54:55], v[46:47]
	v_add_f64_e32 v[58:59], v[58:59], v[68:69]
	s_delay_alu instid0(VALU_DEP_2) | instskip(SKIP_1) | instid1(VALU_DEP_3)
	v_cvt_i32_f64_e32 v2, v[76:77]
	v_mov_b64_e32 v[76:77], v[112:113]
	v_add_f64_e32 v[44:45], v[58:59], v[44:45]
	s_delay_alu instid0(VALU_DEP_3) | instskip(NEXT) | instid1(VALU_DEP_2)
	v_cvt_f64_i32_e32 v[74:75], v2
	v_add_f64_e32 v[0:1], v[0:1], v[44:45]
	s_delay_alu instid0(VALU_DEP_2) | instskip(NEXT) | instid1(VALU_DEP_2)
	v_add_f64_e64 v[46:47], v[46:47], -v[74:75]
	v_add_f64_e32 v[0:1], v[42:43], v[0:1]
	s_delay_alu instid0(VALU_DEP_2) | instskip(NEXT) | instid1(VALU_DEP_1)
	v_add_f64_e32 v[56:57], v[54:55], v[46:47]
	v_add_f64_e64 v[44:45], v[56:57], -v[46:47]
	v_cmp_le_f64_e32 vcc_lo, 0.5, v[56:57]
	s_delay_alu instid0(VALU_DEP_2) | instskip(SKIP_2) | instid1(VALU_DEP_3)
	v_add_f64_e64 v[42:43], v[54:55], -v[44:45]
	v_cndmask_b32_e64 v73, 0, 0x3ff00000, vcc_lo
	v_add_co_ci_u32_e64 v84, null, 0, v2, vcc_lo
	v_add_f64_e32 v[0:1], v[0:1], v[42:43]
	s_delay_alu instid0(VALU_DEP_3) | instskip(NEXT) | instid1(VALU_DEP_1)
	v_add_f64_e64 v[42:43], v[56:57], -v[72:73]
	v_add_f64_e32 v[44:45], v[42:43], v[0:1]
	s_delay_alu instid0(VALU_DEP_1) | instskip(SKIP_1) | instid1(VALU_DEP_2)
	v_mul_f64_e32 v[46:47], 0x3ff921fb54442d18, v[44:45]
	v_add_f64_e64 v[42:43], v[44:45], -v[42:43]
	v_fma_f64 v[48:49], v[44:45], s[18:19], -v[46:47]
	s_delay_alu instid0(VALU_DEP_2) | instskip(NEXT) | instid1(VALU_DEP_2)
	v_add_f64_e64 v[0:1], v[0:1], -v[42:43]
	v_fmamk_f64 v[44:45], v[44:45], 0x3c91a62633145c07, v[48:49]
	s_delay_alu instid0(VALU_DEP_1) | instskip(NEXT) | instid1(VALU_DEP_1)
	v_fmac_f64_e32 v[44:45], 0x3ff921fb54442d18, v[0:1]
	v_add_f64_e32 v[42:43], v[46:47], v[44:45]
	s_delay_alu instid0(VALU_DEP_1) | instskip(NEXT) | instid1(VALU_DEP_1)
	v_add_f64_e64 v[0:1], v[42:43], -v[46:47]
	v_add_f64_e64 v[44:45], v[44:45], -v[0:1]
	s_and_not1_saveexec_b32 s4, s4
	s_cbranch_execz .LBB1_44
	s_branch .LBB1_43
.LBB1_42:
	s_and_not1_saveexec_b32 s4, s4
	s_cbranch_execz .LBB1_44
.LBB1_43:
	s_mov_b64 s[18:19], 0x3fe45f306dc9c883
	s_delay_alu instid0(SALU_CYCLE_1) | instskip(SKIP_1) | instid1(VALU_DEP_1)
	v_mul_f64_e64 v[0:1], |v[76:77]|, s[18:19]
	s_mov_b64 s[18:19], 0xbff921fb54442d18
	v_rndne_f64_e32 v[0:1], v[0:1]
	s_delay_alu instid0(VALU_DEP_1) | instskip(SKIP_2) | instid1(VALU_DEP_3)
	v_fma_f64 v[42:43], v[0:1], s[18:19], |v[76:77]|
	v_mul_f64_e32 v[44:45], 0xbc91a62633145c00, v[0:1]
	v_cvt_i32_f64_e32 v84, v[0:1]
	v_fmamk_f64 v[54:55], v[0:1], 0xbc91a62633145c00, v[42:43]
	s_delay_alu instid0(VALU_DEP_3) | instskip(NEXT) | instid1(VALU_DEP_1)
	v_add_f64_e32 v[46:47], v[42:43], v[44:45]
	v_add_f64_e64 v[48:49], v[42:43], -v[46:47]
	s_delay_alu instid0(VALU_DEP_3) | instskip(NEXT) | instid1(VALU_DEP_2)
	v_add_f64_e64 v[42:43], v[46:47], -v[54:55]
	v_add_f64_e32 v[46:47], v[48:49], v[44:45]
	v_fmamk_f64 v[44:45], v[0:1], 0x3c91a62633145c00, v[44:45]
	s_delay_alu instid0(VALU_DEP_2) | instskip(NEXT) | instid1(VALU_DEP_1)
	v_add_f64_e32 v[42:43], v[42:43], v[46:47]
	v_add_f64_e64 v[42:43], v[42:43], -v[44:45]
	s_delay_alu instid0(VALU_DEP_1) | instskip(NEXT) | instid1(VALU_DEP_1)
	v_fmamk_f64 v[44:45], v[0:1], 0xb97b839a252049c0, v[42:43]
	v_add_f64_e32 v[42:43], v[54:55], v[44:45]
	s_delay_alu instid0(VALU_DEP_1) | instskip(NEXT) | instid1(VALU_DEP_1)
	v_add_f64_e64 v[46:47], v[42:43], -v[54:55]
	v_add_f64_e64 v[44:45], v[44:45], -v[46:47]
.LBB1_44:
	s_or_b32 exec_lo, exec_lo, s4
                                        ; implicit-def: $vgpr85
                                        ; implicit-def: $vgpr46_vgpr47
                                        ; implicit-def: $vgpr48_vgpr49
	s_and_saveexec_b32 s4, s16
	s_delay_alu instid0(SALU_CYCLE_1)
	s_xor_b32 s4, exec_lo, s4
	s_cbranch_execz .LBB1_48
; %bb.45:
	v_cmp_le_f64_e64 vcc_lo, 0x7b000000, |v[76:77]|
	s_mov_b64 s[18:19], 0x3ff921fb54442d18
	v_dual_cndmask_b32 v1, v90, v65 :: v_dual_cndmask_b32 v0, v76, v64
	s_delay_alu instid0(VALU_DEP_1) | instskip(SKIP_1) | instid1(VALU_DEP_2)
	v_mul_f64_e32 v[48:49], v[62:63], v[0:1]
	v_mul_f64_e32 v[46:47], v[60:61], v[0:1]
	v_fma_f64 v[54:55], v[62:63], v[0:1], -v[48:49]
	s_delay_alu instid0(VALU_DEP_1) | instskip(NEXT) | instid1(VALU_DEP_1)
	v_add_f64_e32 v[56:57], v[46:47], v[54:55]
	v_add_f64_e64 v[72:73], v[56:57], -v[46:47]
	v_add_f64_e32 v[58:59], v[48:49], v[56:57]
	s_delay_alu instid0(VALU_DEP_2) | instskip(SKIP_1) | instid1(VALU_DEP_3)
	v_add_f64_e64 v[54:55], v[54:55], -v[72:73]
	v_add_f64_e64 v[72:73], v[56:57], -v[72:73]
	v_ldexp_f64 v[66:67], v[58:59], -2
	v_add_f64_e64 v[48:49], v[58:59], -v[48:49]
	s_delay_alu instid0(VALU_DEP_3) | instskip(SKIP_1) | instid1(VALU_DEP_3)
	v_add_f64_e64 v[72:73], v[46:47], -v[72:73]
	v_fma_f64 v[46:47], v[60:61], v[0:1], -v[46:47]
	v_add_f64_e64 v[48:49], v[56:57], -v[48:49]
	v_fract_f64_e32 v[68:69], v[66:67]
	v_cmp_neq_f64_e64 vcc_lo, 0x7ff00000, |v[66:67]|
	v_add_f64_e32 v[54:55], v[54:55], v[72:73]
	v_mul_f64_e32 v[72:73], v[26:27], v[0:1]
	s_delay_alu instid0(VALU_DEP_1) | instskip(SKIP_1) | instid1(VALU_DEP_2)
	v_add_f64_e32 v[74:75], v[72:73], v[46:47]
	v_fma_f64 v[0:1], v[26:27], v[0:1], -v[72:73]
	v_add_f64_e32 v[76:77], v[74:75], v[54:55]
	s_delay_alu instid0(VALU_DEP_1) | instskip(SKIP_1) | instid1(VALU_DEP_2)
	v_add_f64_e64 v[58:59], v[76:77], -v[74:75]
	v_add_f64_e32 v[56:57], v[48:49], v[76:77]
	v_add_f64_e64 v[54:55], v[54:55], -v[58:59]
	v_add_f64_e64 v[58:59], v[76:77], -v[58:59]
	s_delay_alu instid0(VALU_DEP_3) | instskip(NEXT) | instid1(VALU_DEP_2)
	v_add_f64_e64 v[48:49], v[56:57], -v[48:49]
	v_add_f64_e64 v[58:59], v[74:75], -v[58:59]
	s_delay_alu instid0(VALU_DEP_2) | instskip(SKIP_1) | instid1(VALU_DEP_3)
	v_add_f64_e64 v[48:49], v[76:77], -v[48:49]
	v_mov_b64_e32 v[76:77], v[112:113]
	v_add_f64_e32 v[54:55], v[54:55], v[58:59]
	v_add_f64_e64 v[58:59], v[74:75], -v[72:73]
	s_delay_alu instid0(VALU_DEP_1) | instskip(SKIP_1) | instid1(VALU_DEP_1)
	v_add_f64_e64 v[46:47], v[46:47], -v[58:59]
	v_add_f64_e64 v[58:59], v[74:75], -v[58:59]
	v_add_f64_e64 v[58:59], v[72:73], -v[58:59]
	s_delay_alu instid0(VALU_DEP_1) | instskip(NEXT) | instid1(VALU_DEP_1)
	v_add_f64_e32 v[46:47], v[46:47], v[58:59]
	v_add_f64_e32 v[46:47], v[46:47], v[54:55]
	s_delay_alu instid0(VALU_DEP_1) | instskip(SKIP_1) | instid1(VALU_DEP_1)
	v_add_f64_e32 v[0:1], v[0:1], v[46:47]
	v_ldexp_f64 v[46:47], v[68:69], 2
	v_dual_add_f64 v[0:1], v[48:49], v[0:1] :: v_dual_cndmask_b32 v47, 0, v47, vcc_lo
	s_delay_alu instid0(VALU_DEP_2) | instskip(NEXT) | instid1(VALU_DEP_1)
	v_cndmask_b32_e32 v46, 0, v46, vcc_lo
	v_add_f64_e32 v[48:49], v[56:57], v[46:47]
	s_delay_alu instid0(VALU_DEP_1) | instskip(SKIP_2) | instid1(VALU_DEP_1)
	v_cmp_gt_f64_e32 vcc_lo, 0, v[48:49]
	v_mov_b32_e32 v48, 0
	v_cndmask_b32_e64 v49, 0, 0x40100000, vcc_lo
	v_add_f64_e32 v[46:47], v[46:47], v[48:49]
	s_delay_alu instid0(VALU_DEP_1) | instskip(NEXT) | instid1(VALU_DEP_1)
	v_add_f64_e32 v[54:55], v[56:57], v[46:47]
	v_cvt_i32_f64_e32 v2, v[54:55]
	s_delay_alu instid0(VALU_DEP_1) | instskip(NEXT) | instid1(VALU_DEP_1)
	v_cvt_f64_i32_e32 v[54:55], v2
	v_add_f64_e64 v[46:47], v[46:47], -v[54:55]
	s_delay_alu instid0(VALU_DEP_1) | instskip(NEXT) | instid1(VALU_DEP_1)
	v_add_f64_e32 v[54:55], v[56:57], v[46:47]
	v_add_f64_e64 v[46:47], v[54:55], -v[46:47]
	v_cmp_le_f64_e32 vcc_lo, 0.5, v[54:55]
	s_delay_alu instid0(VALU_DEP_2) | instskip(SKIP_2) | instid1(VALU_DEP_3)
	v_add_f64_e64 v[46:47], v[56:57], -v[46:47]
	v_cndmask_b32_e64 v49, 0, 0x3ff00000, vcc_lo
	v_add_co_ci_u32_e64 v85, null, 0, v2, vcc_lo
	v_add_f64_e32 v[0:1], v[0:1], v[46:47]
	s_delay_alu instid0(VALU_DEP_3) | instskip(NEXT) | instid1(VALU_DEP_1)
	v_add_f64_e64 v[46:47], v[54:55], -v[48:49]
	v_add_f64_e32 v[48:49], v[46:47], v[0:1]
	s_delay_alu instid0(VALU_DEP_1) | instskip(SKIP_1) | instid1(VALU_DEP_2)
	v_add_f64_e64 v[46:47], v[48:49], -v[46:47]
	v_mul_f64_e32 v[54:55], 0x3ff921fb54442d18, v[48:49]
	v_add_f64_e64 v[0:1], v[0:1], -v[46:47]
	s_delay_alu instid0(VALU_DEP_2) | instskip(NEXT) | instid1(VALU_DEP_1)
	v_fma_f64 v[46:47], v[48:49], s[18:19], -v[54:55]
	v_fmamk_f64 v[48:49], v[48:49], 0x3c91a62633145c07, v[46:47]
	s_delay_alu instid0(VALU_DEP_1) | instskip(NEXT) | instid1(VALU_DEP_1)
	v_fmac_f64_e32 v[48:49], 0x3ff921fb54442d18, v[0:1]
	v_add_f64_e32 v[46:47], v[54:55], v[48:49]
	s_delay_alu instid0(VALU_DEP_1) | instskip(NEXT) | instid1(VALU_DEP_1)
	v_add_f64_e64 v[0:1], v[46:47], -v[54:55]
	v_add_f64_e64 v[48:49], v[48:49], -v[0:1]
	s_and_not1_saveexec_b32 s4, s4
	s_cbranch_execnz .LBB1_49
.LBB1_46:
	s_or_b32 exec_lo, exec_lo, s4
	s_delay_alu instid0(SALU_CYCLE_1)
	s_and_b32 vcc_lo, exec_lo, s10
	s_cbranch_vccz .LBB1_50
.LBB1_47:
	v_cmp_le_f64_e64 vcc_lo, 0x7b000000, |s[14:15]|
	s_and_b32 s4, s15, 0x7fffffff
	s_mov_b64 s[18:19], 0x3ff921fb54442d18
	v_cndmask_b32_e32 v1, s4, v23, vcc_lo
	v_cndmask_b32_e32 v0, s14, v22, vcc_lo
	s_mov_b32 s4, 0
	s_delay_alu instid0(VALU_DEP_1) | instskip(SKIP_1) | instid1(VALU_DEP_2)
	v_mul_f64_e32 v[54:55], v[12:13], v[0:1]
	v_mul_f64_e32 v[56:57], v[10:11], v[0:1]
	v_fma_f64 v[58:59], v[12:13], v[0:1], -v[54:55]
	s_delay_alu instid0(VALU_DEP_1) | instskip(NEXT) | instid1(VALU_DEP_1)
	v_add_f64_e32 v[66:67], v[56:57], v[58:59]
	v_add_f64_e64 v[68:69], v[66:67], -v[56:57]
	v_add_f64_e32 v[74:75], v[54:55], v[66:67]
	s_delay_alu instid0(VALU_DEP_2) | instskip(SKIP_2) | instid1(VALU_DEP_4)
	v_add_f64_e64 v[72:73], v[66:67], -v[68:69]
	v_fma_f64 v[88:89], v[10:11], v[0:1], -v[56:57]
	v_add_f64_e64 v[58:59], v[58:59], -v[68:69]
	v_ldexp_f64 v[68:69], v[74:75], -2
	v_mul_f64_e32 v[76:77], v[8:9], v[0:1]
	v_add_f64_e64 v[56:57], v[56:57], -v[72:73]
	s_delay_alu instid0(VALU_DEP_3) | instskip(NEXT) | instid1(VALU_DEP_3)
	v_cmp_neq_f64_e64 vcc_lo, 0x7ff00000, |v[68:69]|
	v_add_f64_e32 v[72:73], v[76:77], v[88:89]
	v_fma_f64 v[0:1], v[8:9], v[0:1], -v[76:77]
	s_delay_alu instid0(VALU_DEP_4) | instskip(SKIP_1) | instid1(VALU_DEP_1)
	v_add_f64_e32 v[56:57], v[58:59], v[56:57]
	v_fract_f64_e32 v[58:59], v[68:69]
	v_ldexp_f64 v[58:59], v[58:59], 2
	s_delay_alu instid0(VALU_DEP_1) | instskip(SKIP_1) | instid1(VALU_DEP_3)
	v_cndmask_b32_e32 v59, 0, v59, vcc_lo
	v_add_f64_e64 v[54:55], v[74:75], -v[54:55]
	v_cndmask_b32_e32 v58, 0, v58, vcc_lo
	s_delay_alu instid0(VALU_DEP_2) | instskip(SKIP_1) | instid1(VALU_DEP_1)
	v_add_f64_e64 v[54:55], v[66:67], -v[54:55]
	v_add_f64_e32 v[66:67], v[72:73], v[56:57]
	v_add_f64_e32 v[68:69], v[54:55], v[66:67]
	v_add_f64_e64 v[92:93], v[66:67], -v[72:73]
	s_delay_alu instid0(VALU_DEP_2) | instskip(NEXT) | instid1(VALU_DEP_2)
	v_add_f64_e32 v[74:75], v[68:69], v[58:59]
	v_add_f64_e64 v[98:99], v[66:67], -v[92:93]
	v_add_f64_e64 v[56:57], v[56:57], -v[92:93]
	;; [unrolled: 1-line block ×3, first 2 shown]
	s_delay_alu instid0(VALU_DEP_4) | instskip(SKIP_1) | instid1(VALU_DEP_3)
	v_cmp_gt_f64_e32 vcc_lo, 0, v[74:75]
	v_add_f64_e64 v[74:75], v[72:73], -v[76:77]
	v_add_f64_e64 v[54:55], v[66:67], -v[54:55]
	s_and_b32 s5, vcc_lo, exec_lo
	s_cselect_b32 s5, 0x40100000, 0
	s_delay_alu instid0(VALU_DEP_2) | instskip(SKIP_3) | instid1(VALU_DEP_4)
	v_add_f64_e64 v[96:97], v[72:73], -v[74:75]
	v_add_f64_e32 v[58:59], s[4:5], v[58:59]
	v_add_f64_e64 v[74:75], v[88:89], -v[74:75]
	v_add_f64_e64 v[72:73], v[72:73], -v[98:99]
	;; [unrolled: 1-line block ×3, first 2 shown]
	s_delay_alu instid0(VALU_DEP_4) | instskip(SKIP_1) | instid1(VALU_DEP_4)
	v_add_f64_e32 v[94:95], v[68:69], v[58:59]
	v_mov_b64_e32 v[76:77], v[112:113]
	v_add_f64_e32 v[56:57], v[56:57], v[72:73]
	s_delay_alu instid0(VALU_DEP_4) | instskip(NEXT) | instid1(VALU_DEP_4)
	v_add_f64_e32 v[74:75], v[74:75], v[88:89]
	v_cvt_i32_f64_e32 v2, v[94:95]
	s_delay_alu instid0(VALU_DEP_2) | instskip(NEXT) | instid1(VALU_DEP_2)
	v_add_f64_e32 v[56:57], v[74:75], v[56:57]
	v_cvt_f64_i32_e32 v[92:93], v2
	s_delay_alu instid0(VALU_DEP_2) | instskip(NEXT) | instid1(VALU_DEP_2)
	v_add_f64_e32 v[0:1], v[0:1], v[56:57]
	v_add_f64_e64 v[58:59], v[58:59], -v[92:93]
	s_delay_alu instid0(VALU_DEP_2) | instskip(NEXT) | instid1(VALU_DEP_2)
	v_add_f64_e32 v[0:1], v[54:55], v[0:1]
	v_add_f64_e32 v[72:73], v[68:69], v[58:59]
	s_delay_alu instid0(VALU_DEP_1) | instskip(SKIP_1) | instid1(VALU_DEP_2)
	v_add_f64_e64 v[56:57], v[72:73], -v[58:59]
	v_cmp_le_f64_e32 vcc_lo, 0.5, v[72:73]
	v_add_f64_e64 v[54:55], v[68:69], -v[56:57]
	s_and_b32 s5, vcc_lo, exec_lo
	s_cselect_b32 s5, 0x3ff00000, 0
	v_add_co_ci_u32_e64 v91, null, 0, v2, vcc_lo
	s_delay_alu instid0(VALU_DEP_2) | instskip(SKIP_1) | instid1(VALU_DEP_1)
	v_add_f64_e32 v[0:1], v[0:1], v[54:55]
	v_add_f64_e64 v[54:55], v[72:73], -s[4:5]
	v_add_f64_e32 v[56:57], v[54:55], v[0:1]
	s_delay_alu instid0(VALU_DEP_1) | instskip(SKIP_1) | instid1(VALU_DEP_2)
	v_mul_f64_e32 v[58:59], 0x3ff921fb54442d18, v[56:57]
	v_add_f64_e64 v[54:55], v[56:57], -v[54:55]
	v_fma_f64 v[66:67], v[56:57], s[18:19], -v[58:59]
	s_delay_alu instid0(VALU_DEP_2) | instskip(NEXT) | instid1(VALU_DEP_2)
	v_add_f64_e64 v[0:1], v[0:1], -v[54:55]
	v_fmamk_f64 v[54:55], v[56:57], 0x3c91a62633145c07, v[66:67]
	s_delay_alu instid0(VALU_DEP_1) | instskip(NEXT) | instid1(VALU_DEP_1)
	v_fmac_f64_e32 v[54:55], 0x3ff921fb54442d18, v[0:1]
	v_add_f64_e32 v[66:67], v[58:59], v[54:55]
	s_delay_alu instid0(VALU_DEP_1) | instskip(NEXT) | instid1(VALU_DEP_1)
	v_add_f64_e64 v[0:1], v[66:67], -v[58:59]
	v_add_f64_e64 v[68:69], v[54:55], -v[0:1]
	s_cbranch_execz .LBB1_51
	s_branch .LBB1_52
.LBB1_48:
	s_and_not1_saveexec_b32 s4, s4
	s_cbranch_execz .LBB1_46
.LBB1_49:
	s_mov_b64 s[18:19], 0x3fe45f306dc9c883
	s_delay_alu instid0(SALU_CYCLE_1) | instskip(SKIP_1) | instid1(VALU_DEP_1)
	v_mul_f64_e64 v[0:1], |v[76:77]|, s[18:19]
	s_mov_b64 s[18:19], 0xbff921fb54442d18
	v_rndne_f64_e32 v[0:1], v[0:1]
	s_delay_alu instid0(VALU_DEP_1) | instskip(SKIP_2) | instid1(VALU_DEP_3)
	v_fma_f64 v[46:47], v[0:1], s[18:19], |v[76:77]|
	v_mul_f64_e32 v[48:49], 0xbc91a62633145c00, v[0:1]
	v_cvt_i32_f64_e32 v85, v[0:1]
	v_fmamk_f64 v[58:59], v[0:1], 0xbc91a62633145c00, v[46:47]
	s_delay_alu instid0(VALU_DEP_3) | instskip(NEXT) | instid1(VALU_DEP_1)
	v_add_f64_e32 v[54:55], v[46:47], v[48:49]
	v_add_f64_e64 v[56:57], v[46:47], -v[54:55]
	s_delay_alu instid0(VALU_DEP_3) | instskip(NEXT) | instid1(VALU_DEP_2)
	v_add_f64_e64 v[46:47], v[54:55], -v[58:59]
	v_add_f64_e32 v[54:55], v[56:57], v[48:49]
	v_fmamk_f64 v[48:49], v[0:1], 0x3c91a62633145c00, v[48:49]
	s_delay_alu instid0(VALU_DEP_2) | instskip(NEXT) | instid1(VALU_DEP_1)
	v_add_f64_e32 v[46:47], v[46:47], v[54:55]
	v_add_f64_e64 v[46:47], v[46:47], -v[48:49]
	s_delay_alu instid0(VALU_DEP_1) | instskip(NEXT) | instid1(VALU_DEP_1)
	v_fmamk_f64 v[48:49], v[0:1], 0xb97b839a252049c0, v[46:47]
	v_add_f64_e32 v[46:47], v[58:59], v[48:49]
	s_delay_alu instid0(VALU_DEP_1) | instskip(NEXT) | instid1(VALU_DEP_1)
	v_add_f64_e64 v[54:55], v[46:47], -v[58:59]
	v_add_f64_e64 v[48:49], v[48:49], -v[54:55]
	s_or_b32 exec_lo, exec_lo, s4
	s_delay_alu instid0(SALU_CYCLE_1)
	s_and_b32 vcc_lo, exec_lo, s10
	s_cbranch_vccnz .LBB1_47
.LBB1_50:
                                        ; implicit-def: $vgpr91
                                        ; implicit-def: $vgpr66_vgpr67
                                        ; implicit-def: $vgpr68_vgpr69
.LBB1_51:
	s_mov_b64 s[4:5], 0x3fe45f306dc9c883
	s_delay_alu instid0(SALU_CYCLE_1) | instskip(SKIP_1) | instid1(VALU_DEP_1)
	v_mul_f64_e64 v[0:1], |s[14:15]|, s[4:5]
	s_mov_b64 s[4:5], 0xbff921fb54442d18
	v_rndne_f64_e32 v[0:1], v[0:1]
	s_delay_alu instid0(VALU_DEP_1) | instskip(SKIP_2) | instid1(VALU_DEP_2)
	v_fma_f64 v[54:55], v[0:1], s[4:5], |s[14:15]|
	v_mul_f64_e32 v[56:57], 0xbc91a62633145c00, v[0:1]
	v_cvt_i32_f64_e32 v91, v[0:1]
	v_add_f64_e32 v[58:59], v[54:55], v[56:57]
	s_delay_alu instid0(VALU_DEP_1) | instskip(SKIP_1) | instid1(VALU_DEP_1)
	v_add_f64_e64 v[66:67], v[54:55], -v[58:59]
	v_fmamk_f64 v[54:55], v[0:1], 0xbc91a62633145c00, v[54:55]
	v_add_f64_e64 v[58:59], v[58:59], -v[54:55]
	s_delay_alu instid0(VALU_DEP_3) | instskip(SKIP_1) | instid1(VALU_DEP_2)
	v_add_f64_e32 v[66:67], v[66:67], v[56:57]
	v_fmamk_f64 v[56:57], v[0:1], 0x3c91a62633145c00, v[56:57]
	v_add_f64_e32 v[58:59], v[58:59], v[66:67]
	s_delay_alu instid0(VALU_DEP_1) | instskip(NEXT) | instid1(VALU_DEP_1)
	v_add_f64_e64 v[56:57], v[58:59], -v[56:57]
	v_fmamk_f64 v[56:57], v[0:1], 0xb97b839a252049c0, v[56:57]
	s_delay_alu instid0(VALU_DEP_1) | instskip(NEXT) | instid1(VALU_DEP_1)
	v_add_f64_e32 v[66:67], v[54:55], v[56:57]
	v_add_f64_e64 v[54:55], v[66:67], -v[54:55]
	s_delay_alu instid0(VALU_DEP_1)
	v_add_f64_e64 v[68:69], v[56:57], -v[54:55]
.LBB1_52:
                                        ; implicit-def: $vgpr89
                                        ; implicit-def: $vgpr0_vgpr1
                                        ; implicit-def: $vgpr58_vgpr59
	s_and_saveexec_b32 s4, s16
	s_delay_alu instid0(SALU_CYCLE_1)
	s_xor_b32 s4, exec_lo, s4
	s_cbranch_execz .LBB1_54
; %bb.53:
	v_cmp_le_f64_e64 vcc_lo, 0x7b000000, |v[76:77]|
	s_mov_b64 s[18:19], 0x3ff921fb54442d18
	v_dual_mov_b32 v96, 0 :: v_dual_cndmask_b32 v1, v90, v65
	v_cndmask_b32_e32 v0, v76, v64, vcc_lo
	s_delay_alu instid0(VALU_DEP_1) | instskip(SKIP_2) | instid1(VALU_DEP_3)
	v_mul_f64_e32 v[54:55], v[62:63], v[0:1]
	v_mul_f64_e32 v[56:57], v[60:61], v[0:1]
	;; [unrolled: 1-line block ×3, first 2 shown]
	v_fma_f64 v[58:59], v[62:63], v[0:1], -v[54:55]
	s_delay_alu instid0(VALU_DEP_3) | instskip(NEXT) | instid1(VALU_DEP_3)
	v_fma_f64 v[94:95], v[60:61], v[0:1], -v[56:57]
	v_fma_f64 v[0:1], v[26:27], v[0:1], -v[92:93]
	s_delay_alu instid0(VALU_DEP_3) | instskip(NEXT) | instid1(VALU_DEP_1)
	v_add_f64_e32 v[72:73], v[56:57], v[58:59]
	v_add_f64_e64 v[74:75], v[72:73], -v[56:57]
	v_add_f64_e32 v[88:89], v[54:55], v[72:73]
	s_delay_alu instid0(VALU_DEP_2) | instskip(SKIP_1) | instid1(VALU_DEP_3)
	v_add_f64_e64 v[76:77], v[72:73], -v[74:75]
	v_add_f64_e64 v[58:59], v[58:59], -v[74:75]
	v_ldexp_f64 v[74:75], v[88:89], -2
	s_delay_alu instid0(VALU_DEP_3) | instskip(SKIP_1) | instid1(VALU_DEP_3)
	v_add_f64_e64 v[56:57], v[56:57], -v[76:77]
	v_add_f64_e32 v[76:77], v[92:93], v[94:95]
	v_cmp_neq_f64_e64 vcc_lo, 0x7ff00000, |v[74:75]|
	s_delay_alu instid0(VALU_DEP_3) | instskip(SKIP_1) | instid1(VALU_DEP_1)
	v_add_f64_e32 v[56:57], v[58:59], v[56:57]
	v_fract_f64_e32 v[58:59], v[74:75]
	v_ldexp_f64 v[58:59], v[58:59], 2
	s_delay_alu instid0(VALU_DEP_1) | instskip(SKIP_1) | instid1(VALU_DEP_3)
	v_cndmask_b32_e32 v59, 0, v59, vcc_lo
	v_add_f64_e64 v[54:55], v[88:89], -v[54:55]
	v_cndmask_b32_e32 v58, 0, v58, vcc_lo
	s_delay_alu instid0(VALU_DEP_2) | instskip(SKIP_1) | instid1(VALU_DEP_1)
	v_add_f64_e64 v[54:55], v[72:73], -v[54:55]
	v_add_f64_e32 v[72:73], v[76:77], v[56:57]
	v_add_f64_e32 v[74:75], v[54:55], v[72:73]
	v_add_f64_e64 v[98:99], v[72:73], -v[76:77]
	s_delay_alu instid0(VALU_DEP_2) | instskip(NEXT) | instid1(VALU_DEP_2)
	v_add_f64_e32 v[88:89], v[74:75], v[58:59]
	v_add_f64_e64 v[104:105], v[72:73], -v[98:99]
	v_add_f64_e64 v[56:57], v[56:57], -v[98:99]
	;; [unrolled: 1-line block ×3, first 2 shown]
	s_delay_alu instid0(VALU_DEP_4) | instskip(SKIP_1) | instid1(VALU_DEP_3)
	v_cmp_gt_f64_e32 vcc_lo, 0, v[88:89]
	v_add_f64_e64 v[88:89], v[76:77], -v[92:93]
	v_add_f64_e64 v[54:55], v[72:73], -v[54:55]
	v_cndmask_b32_e64 v97, 0, 0x40100000, vcc_lo
	s_delay_alu instid0(VALU_DEP_3) | instskip(SKIP_2) | instid1(VALU_DEP_4)
	v_add_f64_e64 v[102:103], v[76:77], -v[88:89]
	v_add_f64_e64 v[88:89], v[94:95], -v[88:89]
	v_add_f64_e64 v[76:77], v[76:77], -v[104:105]
	v_add_f64_e32 v[58:59], v[58:59], v[96:97]
	s_delay_alu instid0(VALU_DEP_4) | instskip(NEXT) | instid1(VALU_DEP_3)
	v_add_f64_e64 v[94:95], v[92:93], -v[102:103]
	v_add_f64_e32 v[56:57], v[56:57], v[76:77]
	s_delay_alu instid0(VALU_DEP_3) | instskip(NEXT) | instid1(VALU_DEP_3)
	v_add_f64_e32 v[100:101], v[74:75], v[58:59]
	v_add_f64_e32 v[88:89], v[88:89], v[94:95]
	s_delay_alu instid0(VALU_DEP_2) | instskip(NEXT) | instid1(VALU_DEP_2)
	v_cvt_i32_f64_e32 v2, v[100:101]
	v_add_f64_e32 v[56:57], v[88:89], v[56:57]
	s_delay_alu instid0(VALU_DEP_2) | instskip(NEXT) | instid1(VALU_DEP_2)
	v_cvt_f64_i32_e32 v[98:99], v2
	v_add_f64_e32 v[0:1], v[0:1], v[56:57]
	s_delay_alu instid0(VALU_DEP_2) | instskip(NEXT) | instid1(VALU_DEP_2)
	v_add_f64_e64 v[58:59], v[58:59], -v[98:99]
	v_add_f64_e32 v[0:1], v[54:55], v[0:1]
	s_delay_alu instid0(VALU_DEP_2) | instskip(NEXT) | instid1(VALU_DEP_1)
	v_add_f64_e32 v[76:77], v[74:75], v[58:59]
	v_add_f64_e64 v[56:57], v[76:77], -v[58:59]
	v_cmp_le_f64_e32 vcc_lo, 0.5, v[76:77]
	s_delay_alu instid0(VALU_DEP_2) | instskip(SKIP_2) | instid1(VALU_DEP_3)
	v_add_f64_e64 v[54:55], v[74:75], -v[56:57]
	v_cndmask_b32_e64 v97, 0, 0x3ff00000, vcc_lo
	v_add_co_ci_u32_e64 v89, null, 0, v2, vcc_lo
	v_add_f64_e32 v[0:1], v[0:1], v[54:55]
	s_delay_alu instid0(VALU_DEP_3) | instskip(SKIP_1) | instid1(VALU_DEP_2)
	v_add_f64_e64 v[54:55], v[76:77], -v[96:97]
	v_mov_b64_e32 v[76:77], v[112:113]
	v_add_f64_e32 v[56:57], v[54:55], v[0:1]
	s_delay_alu instid0(VALU_DEP_1) | instskip(SKIP_1) | instid1(VALU_DEP_2)
	v_mul_f64_e32 v[58:59], 0x3ff921fb54442d18, v[56:57]
	v_add_f64_e64 v[54:55], v[56:57], -v[54:55]
	v_fma_f64 v[72:73], v[56:57], s[18:19], -v[58:59]
	s_delay_alu instid0(VALU_DEP_2) | instskip(NEXT) | instid1(VALU_DEP_2)
	v_add_f64_e64 v[0:1], v[0:1], -v[54:55]
	v_fmamk_f64 v[54:55], v[56:57], 0x3c91a62633145c07, v[72:73]
	s_delay_alu instid0(VALU_DEP_1) | instskip(NEXT) | instid1(VALU_DEP_1)
	v_fmac_f64_e32 v[54:55], 0x3ff921fb54442d18, v[0:1]
	v_add_f64_e32 v[0:1], v[58:59], v[54:55]
	s_delay_alu instid0(VALU_DEP_1) | instskip(NEXT) | instid1(VALU_DEP_1)
	v_add_f64_e64 v[56:57], v[0:1], -v[58:59]
	v_add_f64_e64 v[58:59], v[54:55], -v[56:57]
	s_and_not1_saveexec_b32 s4, s4
	s_cbranch_execz .LBB1_56
	s_branch .LBB1_55
.LBB1_54:
	s_and_not1_saveexec_b32 s4, s4
	s_cbranch_execz .LBB1_56
.LBB1_55:
	s_mov_b64 s[18:19], 0x3fe45f306dc9c883
	s_delay_alu instid0(SALU_CYCLE_1) | instskip(SKIP_1) | instid1(VALU_DEP_1)
	v_mul_f64_e64 v[0:1], |v[76:77]|, s[18:19]
	s_mov_b64 s[18:19], 0xbff921fb54442d18
	v_rndne_f64_e32 v[54:55], v[0:1]
	s_delay_alu instid0(VALU_DEP_1) | instskip(SKIP_2) | instid1(VALU_DEP_3)
	v_fma_f64 v[0:1], v[54:55], s[18:19], |v[76:77]|
	v_mul_f64_e32 v[56:57], 0xbc91a62633145c00, v[54:55]
	v_cvt_i32_f64_e32 v89, v[54:55]
	v_fmamk_f64 v[74:75], v[54:55], 0xbc91a62633145c00, v[0:1]
	s_delay_alu instid0(VALU_DEP_3) | instskip(NEXT) | instid1(VALU_DEP_1)
	v_add_f64_e32 v[58:59], v[0:1], v[56:57]
	v_add_f64_e64 v[72:73], v[0:1], -v[58:59]
	s_delay_alu instid0(VALU_DEP_3) | instskip(NEXT) | instid1(VALU_DEP_2)
	v_add_f64_e64 v[0:1], v[58:59], -v[74:75]
	v_add_f64_e32 v[58:59], v[72:73], v[56:57]
	v_fmamk_f64 v[56:57], v[54:55], 0x3c91a62633145c00, v[56:57]
	s_delay_alu instid0(VALU_DEP_2) | instskip(NEXT) | instid1(VALU_DEP_1)
	v_add_f64_e32 v[0:1], v[0:1], v[58:59]
	v_add_f64_e64 v[0:1], v[0:1], -v[56:57]
	s_delay_alu instid0(VALU_DEP_1) | instskip(NEXT) | instid1(VALU_DEP_1)
	v_fmamk_f64 v[56:57], v[54:55], 0xb97b839a252049c0, v[0:1]
	v_add_f64_e32 v[0:1], v[74:75], v[56:57]
	s_delay_alu instid0(VALU_DEP_1) | instskip(NEXT) | instid1(VALU_DEP_1)
	v_add_f64_e64 v[58:59], v[0:1], -v[74:75]
	v_add_f64_e64 v[58:59], v[56:57], -v[58:59]
.LBB1_56:
	s_or_b32 exec_lo, exec_lo, s4
                                        ; implicit-def: $vgpr88
                                        ; implicit-def: $vgpr54_vgpr55
                                        ; implicit-def: $vgpr56_vgpr57
	s_and_saveexec_b32 s4, s16
	s_delay_alu instid0(SALU_CYCLE_1)
	s_xor_b32 s4, exec_lo, s4
	s_cbranch_execz .LBB1_60
; %bb.57:
	v_cmp_le_f64_e64 vcc_lo, 0x7b000000, |v[76:77]|
	s_mov_b64 s[18:19], 0x3ff921fb54442d18
	v_dual_cndmask_b32 v55, v90, v65 :: v_dual_cndmask_b32 v54, v76, v64
	s_delay_alu instid0(VALU_DEP_1) | instskip(SKIP_1) | instid1(VALU_DEP_2)
	v_mul_f64_e32 v[72:73], v[62:63], v[54:55]
	v_mul_f64_e32 v[56:57], v[60:61], v[54:55]
	v_fma_f64 v[74:75], v[62:63], v[54:55], -v[72:73]
	s_delay_alu instid0(VALU_DEP_1) | instskip(NEXT) | instid1(VALU_DEP_1)
	v_add_f64_e32 v[76:77], v[56:57], v[74:75]
	v_add_f64_e64 v[98:99], v[76:77], -v[56:57]
	v_add_f64_e32 v[92:93], v[72:73], v[76:77]
	s_delay_alu instid0(VALU_DEP_2) | instskip(SKIP_1) | instid1(VALU_DEP_3)
	v_add_f64_e64 v[74:75], v[74:75], -v[98:99]
	v_add_f64_e64 v[98:99], v[76:77], -v[98:99]
	v_ldexp_f64 v[94:95], v[92:93], -2
	v_add_f64_e64 v[72:73], v[92:93], -v[72:73]
	s_delay_alu instid0(VALU_DEP_3) | instskip(SKIP_1) | instid1(VALU_DEP_3)
	v_add_f64_e64 v[98:99], v[56:57], -v[98:99]
	v_fma_f64 v[56:57], v[60:61], v[54:55], -v[56:57]
	v_add_f64_e64 v[72:73], v[76:77], -v[72:73]
	v_fract_f64_e32 v[96:97], v[94:95]
	v_cmp_neq_f64_e64 vcc_lo, 0x7ff00000, |v[94:95]|
	v_add_f64_e32 v[74:75], v[74:75], v[98:99]
	v_mul_f64_e32 v[98:99], v[26:27], v[54:55]
	s_delay_alu instid0(VALU_DEP_1) | instskip(SKIP_1) | instid1(VALU_DEP_2)
	v_add_f64_e32 v[100:101], v[98:99], v[56:57]
	v_fma_f64 v[54:55], v[26:27], v[54:55], -v[98:99]
	v_add_f64_e32 v[102:103], v[100:101], v[74:75]
	s_delay_alu instid0(VALU_DEP_1) | instskip(SKIP_1) | instid1(VALU_DEP_2)
	v_add_f64_e64 v[92:93], v[102:103], -v[100:101]
	v_add_f64_e32 v[76:77], v[72:73], v[102:103]
	v_add_f64_e64 v[74:75], v[74:75], -v[92:93]
	v_add_f64_e64 v[92:93], v[102:103], -v[92:93]
	s_delay_alu instid0(VALU_DEP_3) | instskip(NEXT) | instid1(VALU_DEP_2)
	v_add_f64_e64 v[72:73], v[76:77], -v[72:73]
	v_add_f64_e64 v[92:93], v[100:101], -v[92:93]
	s_delay_alu instid0(VALU_DEP_2) | instskip(NEXT) | instid1(VALU_DEP_2)
	v_add_f64_e64 v[72:73], v[102:103], -v[72:73]
	v_add_f64_e32 v[74:75], v[74:75], v[92:93]
	v_add_f64_e64 v[92:93], v[100:101], -v[98:99]
	s_delay_alu instid0(VALU_DEP_1) | instskip(SKIP_1) | instid1(VALU_DEP_1)
	v_add_f64_e64 v[56:57], v[56:57], -v[92:93]
	v_add_f64_e64 v[92:93], v[100:101], -v[92:93]
	;; [unrolled: 1-line block ×3, first 2 shown]
	s_delay_alu instid0(VALU_DEP_1) | instskip(NEXT) | instid1(VALU_DEP_1)
	v_add_f64_e32 v[56:57], v[56:57], v[92:93]
	v_add_f64_e32 v[56:57], v[56:57], v[74:75]
	s_delay_alu instid0(VALU_DEP_1) | instskip(SKIP_1) | instid1(VALU_DEP_1)
	v_add_f64_e32 v[54:55], v[54:55], v[56:57]
	v_ldexp_f64 v[56:57], v[96:97], 2
	v_dual_add_f64 v[54:55], v[72:73], v[54:55] :: v_dual_cndmask_b32 v57, 0, v57, vcc_lo
	s_delay_alu instid0(VALU_DEP_2) | instskip(NEXT) | instid1(VALU_DEP_1)
	v_cndmask_b32_e32 v56, 0, v56, vcc_lo
	v_add_f64_e32 v[72:73], v[76:77], v[56:57]
	s_delay_alu instid0(VALU_DEP_1) | instskip(SKIP_2) | instid1(VALU_DEP_1)
	v_cmp_gt_f64_e32 vcc_lo, 0, v[72:73]
	v_mov_b32_e32 v72, 0
	v_cndmask_b32_e64 v73, 0, 0x40100000, vcc_lo
	v_add_f64_e32 v[56:57], v[56:57], v[72:73]
	s_delay_alu instid0(VALU_DEP_1) | instskip(NEXT) | instid1(VALU_DEP_1)
	v_add_f64_e32 v[74:75], v[76:77], v[56:57]
	v_cvt_i32_f64_e32 v2, v[74:75]
	s_delay_alu instid0(VALU_DEP_1) | instskip(NEXT) | instid1(VALU_DEP_1)
	v_cvt_f64_i32_e32 v[74:75], v2
	v_add_f64_e64 v[56:57], v[56:57], -v[74:75]
	s_delay_alu instid0(VALU_DEP_1) | instskip(NEXT) | instid1(VALU_DEP_1)
	v_add_f64_e32 v[74:75], v[76:77], v[56:57]
	v_add_f64_e64 v[56:57], v[74:75], -v[56:57]
	v_cmp_le_f64_e32 vcc_lo, 0.5, v[74:75]
	s_delay_alu instid0(VALU_DEP_2) | instskip(SKIP_3) | instid1(VALU_DEP_4)
	v_add_f64_e64 v[56:57], v[76:77], -v[56:57]
	v_cndmask_b32_e64 v73, 0, 0x3ff00000, vcc_lo
	v_mov_b64_e32 v[76:77], v[112:113]
	v_add_co_ci_u32_e64 v88, null, 0, v2, vcc_lo
	v_add_f64_e32 v[54:55], v[54:55], v[56:57]
	s_delay_alu instid0(VALU_DEP_4) | instskip(NEXT) | instid1(VALU_DEP_1)
	v_add_f64_e64 v[56:57], v[74:75], -v[72:73]
	v_add_f64_e32 v[72:73], v[56:57], v[54:55]
	s_delay_alu instid0(VALU_DEP_1) | instskip(NEXT) | instid1(VALU_DEP_1)
	v_add_f64_e64 v[56:57], v[72:73], -v[56:57]
	v_add_f64_e64 v[54:55], v[54:55], -v[56:57]
	v_mul_f64_e32 v[56:57], 0x3ff921fb54442d18, v[72:73]
	s_delay_alu instid0(VALU_DEP_1) | instskip(NEXT) | instid1(VALU_DEP_1)
	v_fma_f64 v[74:75], v[72:73], s[18:19], -v[56:57]
	v_fmamk_f64 v[72:73], v[72:73], 0x3c91a62633145c07, v[74:75]
	s_delay_alu instid0(VALU_DEP_1) | instskip(NEXT) | instid1(VALU_DEP_1)
	v_fmac_f64_e32 v[72:73], 0x3ff921fb54442d18, v[54:55]
	v_add_f64_e32 v[54:55], v[56:57], v[72:73]
	s_delay_alu instid0(VALU_DEP_1) | instskip(NEXT) | instid1(VALU_DEP_1)
	v_add_f64_e64 v[56:57], v[54:55], -v[56:57]
	v_add_f64_e64 v[56:57], v[72:73], -v[56:57]
	s_and_not1_saveexec_b32 s4, s4
	s_cbranch_execnz .LBB1_61
.LBB1_58:
	s_or_b32 exec_lo, exec_lo, s4
	s_delay_alu instid0(SALU_CYCLE_1)
	s_and_b32 vcc_lo, exec_lo, s10
	s_cbranch_vccz .LBB1_62
.LBB1_59:
	v_cmp_le_f64_e64 vcc_lo, 0x7b000000, |s[14:15]|
	s_and_b32 s5, s15, 0x7fffffff
	s_mov_b32 s4, 0
	s_mov_b64 s[10:11], 0x3ff921fb54442d18
	v_cndmask_b32_e32 v23, s5, v23, vcc_lo
	v_cndmask_b32_e32 v22, s14, v22, vcc_lo
	s_delay_alu instid0(VALU_DEP_1) | instskip(SKIP_1) | instid1(VALU_DEP_2)
	v_mul_f64_e32 v[74:75], v[12:13], v[22:23]
	v_mul_f64_e32 v[72:73], v[10:11], v[22:23]
	v_fma_f64 v[12:13], v[12:13], v[22:23], -v[74:75]
	s_delay_alu instid0(VALU_DEP_1) | instskip(NEXT) | instid1(VALU_DEP_1)
	v_add_f64_e32 v[76:77], v[72:73], v[12:13]
	v_add_f64_e32 v[92:93], v[74:75], v[76:77]
	v_fma_f64 v[10:11], v[10:11], v[22:23], -v[72:73]
	s_delay_alu instid0(VALU_DEP_2) | instskip(SKIP_1) | instid1(VALU_DEP_2)
	v_ldexp_f64 v[94:95], v[92:93], -2
	v_add_f64_e64 v[74:75], v[92:93], -v[74:75]
	v_cmp_neq_f64_e64 vcc_lo, 0x7ff00000, |v[94:95]|
	v_add_f64_e64 v[98:99], v[76:77], -v[72:73]
	v_fract_f64_e32 v[96:97], v[94:95]
	s_delay_alu instid0(VALU_DEP_4) | instskip(NEXT) | instid1(VALU_DEP_3)
	v_add_f64_e64 v[74:75], v[76:77], -v[74:75]
	v_add_f64_e64 v[12:13], v[12:13], -v[98:99]
	;; [unrolled: 1-line block ×3, first 2 shown]
	s_delay_alu instid0(VALU_DEP_1) | instskip(SKIP_1) | instid1(VALU_DEP_2)
	v_add_f64_e64 v[98:99], v[72:73], -v[98:99]
	v_mul_f64_e32 v[72:73], v[8:9], v[22:23]
	v_add_f64_e32 v[12:13], v[12:13], v[98:99]
	s_delay_alu instid0(VALU_DEP_2) | instskip(SKIP_1) | instid1(VALU_DEP_2)
	v_add_f64_e32 v[98:99], v[72:73], v[10:11]
	v_fma_f64 v[8:9], v[8:9], v[22:23], -v[72:73]
	v_add_f64_e32 v[100:101], v[98:99], v[12:13]
	s_delay_alu instid0(VALU_DEP_1) | instskip(NEXT) | instid1(VALU_DEP_1)
	v_add_f64_e64 v[92:93], v[100:101], -v[98:99]
	v_add_f64_e64 v[12:13], v[12:13], -v[92:93]
	;; [unrolled: 1-line block ×3, first 2 shown]
	s_delay_alu instid0(VALU_DEP_1) | instskip(NEXT) | instid1(VALU_DEP_1)
	v_add_f64_e64 v[92:93], v[98:99], -v[92:93]
	v_add_f64_e32 v[12:13], v[12:13], v[92:93]
	v_add_f64_e64 v[92:93], v[98:99], -v[72:73]
	s_delay_alu instid0(VALU_DEP_1) | instskip(SKIP_1) | instid1(VALU_DEP_1)
	v_add_f64_e64 v[10:11], v[10:11], -v[92:93]
	v_add_f64_e64 v[92:93], v[98:99], -v[92:93]
	;; [unrolled: 1-line block ×3, first 2 shown]
	s_delay_alu instid0(VALU_DEP_1) | instskip(NEXT) | instid1(VALU_DEP_1)
	v_add_f64_e32 v[10:11], v[10:11], v[92:93]
	v_add_f64_e32 v[10:11], v[10:11], v[12:13]
	s_delay_alu instid0(VALU_DEP_1) | instskip(SKIP_1) | instid1(VALU_DEP_1)
	v_add_f64_e32 v[8:9], v[8:9], v[10:11]
	v_ldexp_f64 v[10:11], v[96:97], 2
	v_dual_add_f64 v[76:77], v[74:75], v[100:101] :: v_dual_cndmask_b32 v10, 0, v10, vcc_lo
	s_delay_alu instid0(VALU_DEP_2) | instskip(NEXT) | instid1(VALU_DEP_1)
	v_cndmask_b32_e32 v11, 0, v11, vcc_lo
	v_add_f64_e32 v[12:13], v[76:77], v[10:11]
	v_add_f64_e64 v[74:75], v[76:77], -v[74:75]
	s_delay_alu instid0(VALU_DEP_2) | instskip(NEXT) | instid1(VALU_DEP_2)
	v_cmp_gt_f64_e32 vcc_lo, 0, v[12:13]
	v_add_f64_e64 v[74:75], v[100:101], -v[74:75]
	s_and_b32 s5, vcc_lo, exec_lo
	s_cselect_b32 s5, 0x40100000, 0
	s_delay_alu instid0(VALU_DEP_1) | instskip(SKIP_1) | instid1(VALU_DEP_1)
	v_add_f64_e32 v[8:9], v[74:75], v[8:9]
	v_add_f64_e32 v[10:11], s[4:5], v[10:11]
	;; [unrolled: 1-line block ×3, first 2 shown]
	s_delay_alu instid0(VALU_DEP_1) | instskip(NEXT) | instid1(VALU_DEP_1)
	v_cvt_i32_f64_e32 v2, v[12:13]
	v_cvt_f64_i32_e32 v[12:13], v2
	s_delay_alu instid0(VALU_DEP_1) | instskip(NEXT) | instid1(VALU_DEP_1)
	v_add_f64_e64 v[10:11], v[10:11], -v[12:13]
	v_add_f64_e32 v[12:13], v[76:77], v[10:11]
	s_delay_alu instid0(VALU_DEP_1) | instskip(SKIP_1) | instid1(VALU_DEP_2)
	v_add_f64_e64 v[10:11], v[12:13], -v[10:11]
	v_cmp_le_f64_e32 vcc_lo, 0.5, v[12:13]
	v_add_f64_e64 v[10:11], v[76:77], -v[10:11]
	s_and_b32 s5, vcc_lo, exec_lo
	s_cselect_b32 s5, 0x3ff00000, 0
	v_add_co_ci_u32_e64 v92, null, 0, v2, vcc_lo
	s_delay_alu instid0(VALU_DEP_2) | instskip(SKIP_1) | instid1(VALU_DEP_1)
	v_add_f64_e32 v[8:9], v[8:9], v[10:11]
	v_add_f64_e64 v[10:11], v[12:13], -s[4:5]
	v_add_f64_e32 v[12:13], v[10:11], v[8:9]
	s_delay_alu instid0(VALU_DEP_1) | instskip(NEXT) | instid1(VALU_DEP_1)
	v_add_f64_e64 v[10:11], v[12:13], -v[10:11]
	v_add_f64_e64 v[8:9], v[8:9], -v[10:11]
	v_mul_f64_e32 v[10:11], 0x3ff921fb54442d18, v[12:13]
	s_delay_alu instid0(VALU_DEP_1) | instskip(NEXT) | instid1(VALU_DEP_1)
	v_fma_f64 v[22:23], v[12:13], s[10:11], -v[10:11]
	v_fmamk_f64 v[12:13], v[12:13], 0x3c91a62633145c07, v[22:23]
	s_delay_alu instid0(VALU_DEP_1) | instskip(NEXT) | instid1(VALU_DEP_1)
	v_fmac_f64_e32 v[12:13], 0x3ff921fb54442d18, v[8:9]
	v_add_f64_e32 v[74:75], v[10:11], v[12:13]
	s_delay_alu instid0(VALU_DEP_1) | instskip(NEXT) | instid1(VALU_DEP_1)
	v_add_f64_e64 v[8:9], v[74:75], -v[10:11]
	v_add_f64_e64 v[76:77], v[12:13], -v[8:9]
	s_cbranch_execz .LBB1_63
	s_branch .LBB1_64
.LBB1_60:
	s_and_not1_saveexec_b32 s4, s4
	s_cbranch_execz .LBB1_58
.LBB1_61:
	s_mov_b64 s[18:19], 0x3fe45f306dc9c883
	s_delay_alu instid0(SALU_CYCLE_1) | instskip(SKIP_1) | instid1(VALU_DEP_1)
	v_mul_f64_e64 v[54:55], |v[76:77]|, s[18:19]
	s_mov_b64 s[18:19], 0xbff921fb54442d18
	v_rndne_f64_e32 v[72:73], v[54:55]
	s_delay_alu instid0(VALU_DEP_1) | instskip(SKIP_2) | instid1(VALU_DEP_3)
	v_fma_f64 v[54:55], v[72:73], s[18:19], |v[76:77]|
	v_mul_f64_e32 v[56:57], 0xbc91a62633145c00, v[72:73]
	v_cvt_i32_f64_e32 v88, v[72:73]
	v_fmamk_f64 v[92:93], v[72:73], 0xbc91a62633145c00, v[54:55]
	s_delay_alu instid0(VALU_DEP_3) | instskip(NEXT) | instid1(VALU_DEP_1)
	v_add_f64_e32 v[74:75], v[54:55], v[56:57]
	v_add_f64_e64 v[76:77], v[54:55], -v[74:75]
	s_delay_alu instid0(VALU_DEP_3) | instskip(NEXT) | instid1(VALU_DEP_2)
	v_add_f64_e64 v[54:55], v[74:75], -v[92:93]
	v_add_f64_e32 v[74:75], v[76:77], v[56:57]
	v_fmamk_f64 v[56:57], v[72:73], 0x3c91a62633145c00, v[56:57]
	s_delay_alu instid0(VALU_DEP_2) | instskip(NEXT) | instid1(VALU_DEP_1)
	v_add_f64_e32 v[54:55], v[54:55], v[74:75]
	v_add_f64_e64 v[54:55], v[54:55], -v[56:57]
	s_delay_alu instid0(VALU_DEP_1) | instskip(NEXT) | instid1(VALU_DEP_1)
	v_fmamk_f64 v[56:57], v[72:73], 0xb97b839a252049c0, v[54:55]
	v_add_f64_e32 v[54:55], v[92:93], v[56:57]
	s_delay_alu instid0(VALU_DEP_1) | instskip(NEXT) | instid1(VALU_DEP_1)
	v_add_f64_e64 v[74:75], v[54:55], -v[92:93]
	v_add_f64_e64 v[56:57], v[56:57], -v[74:75]
	s_or_b32 exec_lo, exec_lo, s4
	s_delay_alu instid0(SALU_CYCLE_1)
	s_and_b32 vcc_lo, exec_lo, s10
	s_cbranch_vccnz .LBB1_59
.LBB1_62:
                                        ; implicit-def: $vgpr92
                                        ; implicit-def: $vgpr74_vgpr75
                                        ; implicit-def: $vgpr76_vgpr77
.LBB1_63:
	s_mov_b64 s[4:5], 0x3fe45f306dc9c883
	s_delay_alu instid0(SALU_CYCLE_1) | instskip(SKIP_1) | instid1(VALU_DEP_1)
	v_mul_f64_e64 v[8:9], |s[14:15]|, s[4:5]
	s_mov_b64 s[4:5], 0xbff921fb54442d18
	v_rndne_f64_e32 v[8:9], v[8:9]
	s_delay_alu instid0(VALU_DEP_1) | instskip(SKIP_2) | instid1(VALU_DEP_2)
	v_fma_f64 v[10:11], v[8:9], s[4:5], |s[14:15]|
	v_mul_f64_e32 v[12:13], 0xbc91a62633145c00, v[8:9]
	v_cvt_i32_f64_e32 v92, v[8:9]
	v_add_f64_e32 v[22:23], v[10:11], v[12:13]
	s_delay_alu instid0(VALU_DEP_1) | instskip(SKIP_1) | instid1(VALU_DEP_1)
	v_add_f64_e64 v[72:73], v[10:11], -v[22:23]
	v_fmamk_f64 v[10:11], v[8:9], 0xbc91a62633145c00, v[10:11]
	v_add_f64_e64 v[22:23], v[22:23], -v[10:11]
	s_delay_alu instid0(VALU_DEP_3) | instskip(SKIP_1) | instid1(VALU_DEP_2)
	v_add_f64_e32 v[72:73], v[72:73], v[12:13]
	v_fmamk_f64 v[12:13], v[8:9], 0x3c91a62633145c00, v[12:13]
	v_add_f64_e32 v[22:23], v[22:23], v[72:73]
	s_delay_alu instid0(VALU_DEP_1) | instskip(NEXT) | instid1(VALU_DEP_1)
	v_add_f64_e64 v[12:13], v[22:23], -v[12:13]
	v_fmamk_f64 v[12:13], v[8:9], 0xb97b839a252049c0, v[12:13]
	s_delay_alu instid0(VALU_DEP_1) | instskip(NEXT) | instid1(VALU_DEP_1)
	v_add_f64_e32 v[74:75], v[10:11], v[12:13]
	v_add_f64_e64 v[10:11], v[74:75], -v[10:11]
	s_delay_alu instid0(VALU_DEP_1)
	v_add_f64_e64 v[76:77], v[12:13], -v[10:11]
.LBB1_64:
                                        ; implicit-def: $vgpr11
                                        ; implicit-def: $vgpr22_vgpr23
                                        ; implicit-def: $vgpr72_vgpr73
	s_and_saveexec_b32 s4, s3
	s_delay_alu instid0(SALU_CYCLE_1)
	s_xor_b32 s3, exec_lo, s4
	s_cbranch_execz .LBB1_66
; %bb.65:
	v_mov_b64_e32 v[2:3], v[114:115]
	s_mov_b64 s[4:5], 0x3ff921fb54442d18
	v_mov_b32_e32 v98, 0
	s_delay_alu instid0(VALU_DEP_2) | instskip(SKIP_1) | instid1(VALU_DEP_1)
	v_cmp_le_f64_e64 vcc_lo, 0x7b000000, |v[2:3]|
	v_dual_cndmask_b32 v9, v80, v71 :: v_dual_cndmask_b32 v8, v2, v70
	v_mul_f64_e32 v[10:11], v[28:29], v[8:9]
	v_mul_f64_e32 v[12:13], v[24:25], v[8:9]
	;; [unrolled: 1-line block ×3, first 2 shown]
	s_delay_alu instid0(VALU_DEP_3) | instskip(NEXT) | instid1(VALU_DEP_3)
	v_fma_f64 v[22:23], v[28:29], v[8:9], -v[10:11]
	v_fma_f64 v[24:25], v[24:25], v[8:9], -v[12:13]
	s_delay_alu instid0(VALU_DEP_3) | instskip(NEXT) | instid1(VALU_DEP_3)
	v_fma_f64 v[6:7], v[6:7], v[8:9], -v[96:97]
	v_add_f64_e32 v[28:29], v[12:13], v[22:23]
	s_delay_alu instid0(VALU_DEP_1) | instskip(SKIP_1) | instid1(VALU_DEP_2)
	v_add_f64_e64 v[70:71], v[28:29], -v[12:13]
	v_add_f64_e32 v[94:95], v[10:11], v[28:29]
	v_add_f64_e64 v[72:73], v[28:29], -v[70:71]
	v_add_f64_e64 v[22:23], v[22:23], -v[70:71]
	s_delay_alu instid0(VALU_DEP_3) | instskip(NEXT) | instid1(VALU_DEP_3)
	v_ldexp_f64 v[70:71], v[94:95], -2
	v_add_f64_e64 v[12:13], v[12:13], -v[72:73]
	v_add_f64_e32 v[72:73], v[96:97], v[24:25]
	s_delay_alu instid0(VALU_DEP_3) | instskip(NEXT) | instid1(VALU_DEP_3)
	v_cmp_neq_f64_e64 vcc_lo, 0x7ff00000, |v[70:71]|
	v_add_f64_e32 v[12:13], v[22:23], v[12:13]
	v_fract_f64_e32 v[22:23], v[70:71]
	s_delay_alu instid0(VALU_DEP_1) | instskip(NEXT) | instid1(VALU_DEP_1)
	v_ldexp_f64 v[22:23], v[22:23], 2
	v_cndmask_b32_e32 v23, 0, v23, vcc_lo
	v_add_f64_e64 v[10:11], v[94:95], -v[10:11]
	s_delay_alu instid0(VALU_DEP_3) | instskip(NEXT) | instid1(VALU_DEP_2)
	v_cndmask_b32_e32 v22, 0, v22, vcc_lo
	v_add_f64_e64 v[10:11], v[28:29], -v[10:11]
	v_add_f64_e32 v[28:29], v[72:73], v[12:13]
	s_delay_alu instid0(VALU_DEP_1) | instskip(SKIP_1) | instid1(VALU_DEP_2)
	v_add_f64_e32 v[70:71], v[10:11], v[28:29]
	v_add_f64_e64 v[100:101], v[28:29], -v[72:73]
	v_add_f64_e32 v[94:95], v[70:71], v[22:23]
	s_delay_alu instid0(VALU_DEP_2) | instskip(SKIP_2) | instid1(VALU_DEP_4)
	v_add_f64_e64 v[106:107], v[28:29], -v[100:101]
	v_add_f64_e64 v[12:13], v[12:13], -v[100:101]
	;; [unrolled: 1-line block ×3, first 2 shown]
	v_cmp_gt_f64_e32 vcc_lo, 0, v[94:95]
	v_add_f64_e64 v[94:95], v[72:73], -v[96:97]
	s_delay_alu instid0(VALU_DEP_3) | instskip(SKIP_1) | instid1(VALU_DEP_3)
	v_add_f64_e64 v[8:9], v[28:29], -v[8:9]
	v_cndmask_b32_e64 v99, 0, 0x40100000, vcc_lo
	v_add_f64_e64 v[104:105], v[72:73], -v[94:95]
	v_add_f64_e64 v[24:25], v[24:25], -v[94:95]
	;; [unrolled: 1-line block ×3, first 2 shown]
	s_delay_alu instid0(VALU_DEP_4) | instskip(NEXT) | instid1(VALU_DEP_4)
	v_add_f64_e32 v[22:23], v[22:23], v[98:99]
	v_add_f64_e64 v[94:95], v[96:97], -v[104:105]
	s_delay_alu instid0(VALU_DEP_3) | instskip(NEXT) | instid1(VALU_DEP_3)
	v_add_f64_e32 v[12:13], v[12:13], v[72:73]
	v_add_f64_e32 v[102:103], v[70:71], v[22:23]
	s_delay_alu instid0(VALU_DEP_3) | instskip(NEXT) | instid1(VALU_DEP_2)
	v_add_f64_e32 v[24:25], v[24:25], v[94:95]
	v_cvt_i32_f64_e32 v2, v[102:103]
	s_delay_alu instid0(VALU_DEP_2) | instskip(NEXT) | instid1(VALU_DEP_2)
	v_add_f64_e32 v[10:11], v[24:25], v[12:13]
	v_cvt_f64_i32_e32 v[100:101], v2
	s_delay_alu instid0(VALU_DEP_2) | instskip(NEXT) | instid1(VALU_DEP_2)
	v_add_f64_e32 v[6:7], v[6:7], v[10:11]
	v_add_f64_e64 v[22:23], v[22:23], -v[100:101]
	s_delay_alu instid0(VALU_DEP_2) | instskip(NEXT) | instid1(VALU_DEP_2)
	v_add_f64_e32 v[6:7], v[8:9], v[6:7]
	v_add_f64_e32 v[12:13], v[70:71], v[22:23]
	s_delay_alu instid0(VALU_DEP_1) | instskip(SKIP_1) | instid1(VALU_DEP_2)
	v_add_f64_e64 v[10:11], v[12:13], -v[22:23]
	v_cmp_le_f64_e32 vcc_lo, 0.5, v[12:13]
	v_add_f64_e64 v[8:9], v[70:71], -v[10:11]
	v_cndmask_b32_e64 v99, 0, 0x3ff00000, vcc_lo
	v_add_co_ci_u32_e64 v11, null, 0, v2, vcc_lo
	s_delay_alu instid0(VALU_DEP_3) | instskip(NEXT) | instid1(VALU_DEP_3)
	v_add_f64_e32 v[6:7], v[6:7], v[8:9]
	v_add_f64_e64 v[8:9], v[12:13], -v[98:99]
	s_delay_alu instid0(VALU_DEP_1) | instskip(NEXT) | instid1(VALU_DEP_1)
	v_add_f64_e32 v[12:13], v[8:9], v[6:7]
	v_mul_f64_e32 v[24:25], 0x3ff921fb54442d18, v[12:13]
	v_add_f64_e64 v[8:9], v[12:13], -v[8:9]
	s_delay_alu instid0(VALU_DEP_2) | instskip(NEXT) | instid1(VALU_DEP_2)
	v_fma_f64 v[22:23], v[12:13], s[4:5], -v[24:25]
	v_add_f64_e64 v[6:7], v[6:7], -v[8:9]
	s_delay_alu instid0(VALU_DEP_2) | instskip(NEXT) | instid1(VALU_DEP_1)
	v_fmamk_f64 v[8:9], v[12:13], 0x3c91a62633145c07, v[22:23]
	v_fmac_f64_e32 v[8:9], 0x3ff921fb54442d18, v[6:7]
	s_delay_alu instid0(VALU_DEP_1) | instskip(NEXT) | instid1(VALU_DEP_1)
	v_add_f64_e32 v[22:23], v[24:25], v[8:9]
	v_add_f64_e64 v[6:7], v[22:23], -v[24:25]
	s_delay_alu instid0(VALU_DEP_1)
	v_add_f64_e64 v[72:73], v[8:9], -v[6:7]
	s_and_not1_saveexec_b32 s3, s3
	s_cbranch_execz .LBB1_68
	s_branch .LBB1_67
.LBB1_66:
	s_and_not1_saveexec_b32 s3, s3
	s_cbranch_execz .LBB1_68
.LBB1_67:
	v_mov_b64_e32 v[2:3], v[114:115]
	s_mov_b64 s[4:5], 0x3fe45f306dc9c883
	s_delay_alu instid0(VALU_DEP_1) | instid1(SALU_CYCLE_1)
	v_mul_f64_e64 v[6:7], |v[2:3]|, s[4:5]
	s_mov_b64 s[4:5], 0xbff921fb54442d18
	s_delay_alu instid0(VALU_DEP_1) | instskip(NEXT) | instid1(VALU_DEP_1)
	v_rndne_f64_e32 v[6:7], v[6:7]
	v_fma_f64 v[8:9], v[6:7], s[4:5], |v[2:3]|
	v_mul_f64_e32 v[10:11], 0xbc91a62633145c00, v[6:7]
	s_delay_alu instid0(VALU_DEP_1) | instskip(NEXT) | instid1(VALU_DEP_1)
	v_add_f64_e32 v[12:13], v[8:9], v[10:11]
	v_add_f64_e64 v[22:23], v[8:9], -v[12:13]
	v_fmamk_f64 v[8:9], v[6:7], 0xbc91a62633145c00, v[8:9]
	s_delay_alu instid0(VALU_DEP_1) | instskip(NEXT) | instid1(VALU_DEP_3)
	v_add_f64_e64 v[12:13], v[12:13], -v[8:9]
	v_add_f64_e32 v[22:23], v[22:23], v[10:11]
	v_fmamk_f64 v[10:11], v[6:7], 0x3c91a62633145c00, v[10:11]
	s_delay_alu instid0(VALU_DEP_2) | instskip(NEXT) | instid1(VALU_DEP_1)
	v_add_f64_e32 v[12:13], v[12:13], v[22:23]
	v_add_f64_e64 v[10:11], v[12:13], -v[10:11]
	s_delay_alu instid0(VALU_DEP_1) | instskip(NEXT) | instid1(VALU_DEP_1)
	v_fmamk_f64 v[10:11], v[6:7], 0xb97b839a252049c0, v[10:11]
	v_add_f64_e32 v[22:23], v[8:9], v[10:11]
	s_delay_alu instid0(VALU_DEP_1) | instskip(NEXT) | instid1(VALU_DEP_1)
	v_add_f64_e64 v[8:9], v[22:23], -v[8:9]
	v_add_f64_e64 v[72:73], v[10:11], -v[8:9]
	v_cvt_i32_f64_e32 v11, v[6:7]
.LBB1_68:
	s_or_b32 exec_lo, exec_lo, s3
                                        ; implicit-def: $vgpr10
                                        ; implicit-def: $vgpr6_vgpr7
                                        ; implicit-def: $vgpr70_vgpr71
	s_and_saveexec_b32 s3, s16
	s_delay_alu instid0(SALU_CYCLE_1)
	s_xor_b32 s3, exec_lo, s3
	s_cbranch_execz .LBB1_70
; %bb.69:
	v_mov_b64_e32 v[2:3], v[112:113]
	s_mov_b64 s[4:5], 0x3ff921fb54442d18
	s_delay_alu instid0(VALU_DEP_1) | instskip(SKIP_2) | instid1(VALU_DEP_1)
	v_cmp_le_f64_e64 vcc_lo, 0x7b000000, |v[2:3]|
	v_cndmask_b32_e32 v7, v90, v65, vcc_lo
	v_cndmask_b32_e32 v6, v2, v64, vcc_lo
	v_mul_f64_e32 v[12:13], v[62:63], v[6:7]
	v_mul_f64_e32 v[8:9], v[60:61], v[6:7]
	s_delay_alu instid0(VALU_DEP_2) | instskip(NEXT) | instid1(VALU_DEP_1)
	v_fma_f64 v[24:25], v[62:63], v[6:7], -v[12:13]
	v_add_f64_e32 v[28:29], v[8:9], v[24:25]
	s_delay_alu instid0(VALU_DEP_1) | instskip(SKIP_1) | instid1(VALU_DEP_2)
	v_add_f64_e64 v[98:99], v[28:29], -v[8:9]
	v_add_f64_e32 v[70:71], v[12:13], v[28:29]
	v_add_f64_e64 v[24:25], v[24:25], -v[98:99]
	v_add_f64_e64 v[98:99], v[28:29], -v[98:99]
	s_delay_alu instid0(VALU_DEP_3) | instskip(SKIP_1) | instid1(VALU_DEP_3)
	v_ldexp_f64 v[94:95], v[70:71], -2
	v_add_f64_e64 v[12:13], v[70:71], -v[12:13]
	v_add_f64_e64 v[98:99], v[8:9], -v[98:99]
	v_fma_f64 v[8:9], v[60:61], v[6:7], -v[8:9]
	s_delay_alu instid0(VALU_DEP_3) | instskip(SKIP_4) | instid1(VALU_DEP_1)
	v_add_f64_e64 v[12:13], v[28:29], -v[12:13]
	v_fract_f64_e32 v[96:97], v[94:95]
	v_cmp_neq_f64_e64 vcc_lo, 0x7ff00000, |v[94:95]|
	v_add_f64_e32 v[24:25], v[24:25], v[98:99]
	v_mul_f64_e32 v[98:99], v[26:27], v[6:7]
	v_add_f64_e32 v[100:101], v[98:99], v[8:9]
	v_fma_f64 v[6:7], v[26:27], v[6:7], -v[98:99]
	s_delay_alu instid0(VALU_DEP_2) | instskip(NEXT) | instid1(VALU_DEP_1)
	v_add_f64_e32 v[102:103], v[100:101], v[24:25]
	v_add_f64_e64 v[70:71], v[102:103], -v[100:101]
	v_add_f64_e32 v[28:29], v[12:13], v[102:103]
	s_delay_alu instid0(VALU_DEP_2) | instskip(SKIP_1) | instid1(VALU_DEP_3)
	v_add_f64_e64 v[24:25], v[24:25], -v[70:71]
	v_add_f64_e64 v[70:71], v[102:103], -v[70:71]
	;; [unrolled: 1-line block ×3, first 2 shown]
	s_delay_alu instid0(VALU_DEP_2) | instskip(NEXT) | instid1(VALU_DEP_2)
	v_add_f64_e64 v[70:71], v[100:101], -v[70:71]
	v_add_f64_e64 v[12:13], v[102:103], -v[12:13]
	s_delay_alu instid0(VALU_DEP_2) | instskip(SKIP_1) | instid1(VALU_DEP_1)
	v_add_f64_e32 v[24:25], v[24:25], v[70:71]
	v_add_f64_e64 v[70:71], v[100:101], -v[98:99]
	v_add_f64_e64 v[8:9], v[8:9], -v[70:71]
	;; [unrolled: 1-line block ×3, first 2 shown]
	s_delay_alu instid0(VALU_DEP_1) | instskip(NEXT) | instid1(VALU_DEP_1)
	v_add_f64_e64 v[70:71], v[98:99], -v[70:71]
	v_add_f64_e32 v[8:9], v[8:9], v[70:71]
	s_delay_alu instid0(VALU_DEP_1) | instskip(NEXT) | instid1(VALU_DEP_1)
	v_add_f64_e32 v[8:9], v[8:9], v[24:25]
	v_add_f64_e32 v[6:7], v[6:7], v[8:9]
	v_ldexp_f64 v[8:9], v[96:97], 2
	s_delay_alu instid0(VALU_DEP_1) | instskip(NEXT) | instid1(VALU_DEP_2)
	v_dual_add_f64 v[6:7], v[12:13], v[6:7] :: v_dual_cndmask_b32 v9, 0, v9, vcc_lo
	v_cndmask_b32_e32 v8, 0, v8, vcc_lo
	s_delay_alu instid0(VALU_DEP_1) | instskip(NEXT) | instid1(VALU_DEP_1)
	v_add_f64_e32 v[12:13], v[28:29], v[8:9]
	v_cmp_gt_f64_e32 vcc_lo, 0, v[12:13]
	v_mov_b32_e32 v12, 0
	v_cndmask_b32_e64 v13, 0, 0x40100000, vcc_lo
	s_delay_alu instid0(VALU_DEP_1) | instskip(NEXT) | instid1(VALU_DEP_1)
	v_add_f64_e32 v[8:9], v[8:9], v[12:13]
	v_add_f64_e32 v[24:25], v[28:29], v[8:9]
	s_delay_alu instid0(VALU_DEP_1) | instskip(NEXT) | instid1(VALU_DEP_1)
	v_cvt_i32_f64_e32 v2, v[24:25]
	v_cvt_f64_i32_e32 v[24:25], v2
	s_delay_alu instid0(VALU_DEP_1) | instskip(NEXT) | instid1(VALU_DEP_1)
	v_add_f64_e64 v[8:9], v[8:9], -v[24:25]
	v_add_f64_e32 v[24:25], v[28:29], v[8:9]
	s_delay_alu instid0(VALU_DEP_1) | instskip(SKIP_1) | instid1(VALU_DEP_2)
	v_add_f64_e64 v[8:9], v[24:25], -v[8:9]
	v_cmp_le_f64_e32 vcc_lo, 0.5, v[24:25]
	v_add_f64_e64 v[8:9], v[28:29], -v[8:9]
	v_cndmask_b32_e64 v13, 0, 0x3ff00000, vcc_lo
	v_add_co_ci_u32_e64 v10, null, 0, v2, vcc_lo
	s_delay_alu instid0(VALU_DEP_3) | instskip(NEXT) | instid1(VALU_DEP_3)
	v_add_f64_e32 v[6:7], v[6:7], v[8:9]
	v_add_f64_e64 v[8:9], v[24:25], -v[12:13]
	s_delay_alu instid0(VALU_DEP_1) | instskip(NEXT) | instid1(VALU_DEP_1)
	v_add_f64_e32 v[12:13], v[8:9], v[6:7]
	v_add_f64_e64 v[8:9], v[12:13], -v[8:9]
	s_delay_alu instid0(VALU_DEP_1) | instskip(SKIP_1) | instid1(VALU_DEP_1)
	v_add_f64_e64 v[6:7], v[6:7], -v[8:9]
	v_mul_f64_e32 v[8:9], 0x3ff921fb54442d18, v[12:13]
	v_fma_f64 v[24:25], v[12:13], s[4:5], -v[8:9]
	s_delay_alu instid0(VALU_DEP_1) | instskip(NEXT) | instid1(VALU_DEP_1)
	v_fmamk_f64 v[12:13], v[12:13], 0x3c91a62633145c07, v[24:25]
	v_fmac_f64_e32 v[12:13], 0x3ff921fb54442d18, v[6:7]
	s_delay_alu instid0(VALU_DEP_1) | instskip(NEXT) | instid1(VALU_DEP_1)
	v_add_f64_e32 v[6:7], v[8:9], v[12:13]
	v_add_f64_e64 v[8:9], v[6:7], -v[8:9]
	s_delay_alu instid0(VALU_DEP_1)
	v_add_f64_e64 v[70:71], v[12:13], -v[8:9]
	s_and_not1_saveexec_b32 s3, s3
	s_cbranch_execnz .LBB1_71
	s_branch .LBB1_72
.LBB1_70:
	s_and_not1_saveexec_b32 s3, s3
	s_cbranch_execz .LBB1_72
.LBB1_71:
	v_mov_b64_e32 v[2:3], v[112:113]
	s_mov_b64 s[4:5], 0x3fe45f306dc9c883
	s_delay_alu instid0(VALU_DEP_1) | instid1(SALU_CYCLE_1)
	v_mul_f64_e64 v[6:7], |v[2:3]|, s[4:5]
	s_mov_b64 s[4:5], 0xbff921fb54442d18
	s_delay_alu instid0(VALU_DEP_1) | instskip(NEXT) | instid1(VALU_DEP_1)
	v_rndne_f64_e32 v[8:9], v[6:7]
	v_fma_f64 v[6:7], v[8:9], s[4:5], |v[2:3]|
	v_mul_f64_e32 v[12:13], 0xbc91a62633145c00, v[8:9]
	v_cvt_i32_f64_e32 v10, v[8:9]
	s_delay_alu instid0(VALU_DEP_3) | instskip(NEXT) | instid1(VALU_DEP_3)
	v_fmamk_f64 v[70:71], v[8:9], 0xbc91a62633145c00, v[6:7]
	v_add_f64_e32 v[24:25], v[6:7], v[12:13]
	s_delay_alu instid0(VALU_DEP_1) | instskip(NEXT) | instid1(VALU_DEP_3)
	v_add_f64_e64 v[28:29], v[6:7], -v[24:25]
	v_add_f64_e64 v[6:7], v[24:25], -v[70:71]
	s_delay_alu instid0(VALU_DEP_2) | instskip(SKIP_1) | instid1(VALU_DEP_2)
	v_add_f64_e32 v[24:25], v[28:29], v[12:13]
	v_fmamk_f64 v[12:13], v[8:9], 0x3c91a62633145c00, v[12:13]
	v_add_f64_e32 v[6:7], v[6:7], v[24:25]
	s_delay_alu instid0(VALU_DEP_1) | instskip(NEXT) | instid1(VALU_DEP_1)
	v_add_f64_e64 v[6:7], v[6:7], -v[12:13]
	v_fmamk_f64 v[12:13], v[8:9], 0xb97b839a252049c0, v[6:7]
	s_delay_alu instid0(VALU_DEP_1) | instskip(NEXT) | instid1(VALU_DEP_1)
	v_add_f64_e32 v[6:7], v[70:71], v[12:13]
	v_add_f64_e64 v[24:25], v[6:7], -v[70:71]
	s_delay_alu instid0(VALU_DEP_1)
	v_add_f64_e64 v[70:71], v[12:13], -v[24:25]
.LBB1_72:
	s_or_b32 exec_lo, exec_lo, s3
	s_load_b64 s[10:11], s[0:1], 0x0
                                        ; implicit-def: $vgpr80
                                        ; implicit-def: $vgpr24_vgpr25
                                        ; implicit-def: $vgpr28_vgpr29
	s_wait_xcnt 0x0
	s_and_saveexec_b32 s0, s16
	s_delay_alu instid0(SALU_CYCLE_1)
	s_xor_b32 s0, exec_lo, s0
	s_cbranch_execz .LBB1_74
; %bb.73:
	v_mov_b64_e32 v[2:3], v[112:113]
	s_mov_b64 s[4:5], 0x3ff921fb54442d18
	v_mov_b32_e32 v100, 0
	s_delay_alu instid0(VALU_DEP_2) | instskip(SKIP_2) | instid1(VALU_DEP_1)
	v_cmp_le_f64_e64 vcc_lo, 0x7b000000, |v[2:3]|
	v_cndmask_b32_e32 v9, v90, v65, vcc_lo
	v_cndmask_b32_e32 v8, v2, v64, vcc_lo
	v_mul_f64_e32 v[12:13], v[62:63], v[8:9]
	v_mul_f64_e32 v[24:25], v[60:61], v[8:9]
	s_delay_alu instid0(VALU_DEP_2) | instskip(NEXT) | instid1(VALU_DEP_1)
	v_fma_f64 v[28:29], v[62:63], v[8:9], -v[12:13]
	v_add_f64_e32 v[62:63], v[24:25], v[28:29]
	s_delay_alu instid0(VALU_DEP_1) | instskip(SKIP_2) | instid1(VALU_DEP_3)
	v_add_f64_e64 v[64:65], v[62:63], -v[24:25]
	v_add_f64_e32 v[96:97], v[12:13], v[62:63]
	v_fma_f64 v[60:61], v[60:61], v[8:9], -v[24:25]
	v_add_f64_e64 v[94:95], v[62:63], -v[64:65]
	v_add_f64_e64 v[28:29], v[28:29], -v[64:65]
	s_delay_alu instid0(VALU_DEP_4) | instskip(SKIP_1) | instid1(VALU_DEP_4)
	v_ldexp_f64 v[64:65], v[96:97], -2
	v_add_f64_e64 v[12:13], v[96:97], -v[12:13]
	v_add_f64_e64 v[24:25], v[24:25], -v[94:95]
	v_mul_f64_e32 v[98:99], v[26:27], v[8:9]
	s_delay_alu instid0(VALU_DEP_4) | instskip(NEXT) | instid1(VALU_DEP_4)
	v_cmp_neq_f64_e64 vcc_lo, 0x7ff00000, |v[64:65]|
	v_add_f64_e64 v[12:13], v[62:63], -v[12:13]
	s_delay_alu instid0(VALU_DEP_4) | instskip(NEXT) | instid1(VALU_DEP_4)
	v_add_f64_e32 v[24:25], v[28:29], v[24:25]
	v_add_f64_e32 v[94:95], v[98:99], v[60:61]
	v_fract_f64_e32 v[28:29], v[64:65]
	v_fma_f64 v[8:9], v[26:27], v[8:9], -v[98:99]
	s_delay_alu instid0(VALU_DEP_3) | instskip(NEXT) | instid1(VALU_DEP_3)
	v_add_f64_e32 v[62:63], v[94:95], v[24:25]
	v_ldexp_f64 v[28:29], v[28:29], 2
	s_delay_alu instid0(VALU_DEP_1) | instskip(NEXT) | instid1(VALU_DEP_2)
	v_dual_add_f64 v[64:65], v[12:13], v[62:63] :: v_dual_cndmask_b32 v29, 0, v29, vcc_lo
	v_dual_add_f64 v[102:103], v[62:63], -v[94:95] :: v_dual_cndmask_b32 v28, 0, v28, vcc_lo
	s_delay_alu instid0(VALU_DEP_1) | instskip(SKIP_1) | instid1(VALU_DEP_3)
	v_add_f64_e32 v[96:97], v[64:65], v[28:29]
	v_add_f64_e64 v[12:13], v[64:65], -v[12:13]
	v_add_f64_e64 v[108:109], v[62:63], -v[102:103]
	;; [unrolled: 1-line block ×3, first 2 shown]
	s_delay_alu instid0(VALU_DEP_4) | instskip(SKIP_3) | instid1(VALU_DEP_3)
	v_cmp_gt_f64_e32 vcc_lo, 0, v[96:97]
	v_add_f64_e64 v[96:97], v[94:95], -v[98:99]
	v_add_f64_e64 v[12:13], v[62:63], -v[12:13]
	v_cndmask_b32_e64 v101, 0, 0x40100000, vcc_lo
	v_add_f64_e64 v[106:107], v[94:95], -v[96:97]
	v_add_f64_e64 v[60:61], v[60:61], -v[96:97]
	;; [unrolled: 1-line block ×3, first 2 shown]
	s_delay_alu instid0(VALU_DEP_4) | instskip(NEXT) | instid1(VALU_DEP_4)
	v_add_f64_e32 v[28:29], v[28:29], v[100:101]
	v_add_f64_e64 v[96:97], v[98:99], -v[106:107]
	s_delay_alu instid0(VALU_DEP_3) | instskip(NEXT) | instid1(VALU_DEP_3)
	v_add_f64_e32 v[24:25], v[24:25], v[94:95]
	v_add_f64_e32 v[104:105], v[64:65], v[28:29]
	s_delay_alu instid0(VALU_DEP_3) | instskip(NEXT) | instid1(VALU_DEP_2)
	v_add_f64_e32 v[60:61], v[60:61], v[96:97]
	v_cvt_i32_f64_e32 v2, v[104:105]
	s_delay_alu instid0(VALU_DEP_2) | instskip(NEXT) | instid1(VALU_DEP_2)
	v_add_f64_e32 v[24:25], v[60:61], v[24:25]
	v_cvt_f64_i32_e32 v[102:103], v2
	s_delay_alu instid0(VALU_DEP_2) | instskip(NEXT) | instid1(VALU_DEP_2)
	v_add_f64_e32 v[8:9], v[8:9], v[24:25]
	v_add_f64_e64 v[28:29], v[28:29], -v[102:103]
	s_delay_alu instid0(VALU_DEP_2) | instskip(NEXT) | instid1(VALU_DEP_2)
	v_add_f64_e32 v[8:9], v[12:13], v[8:9]
	v_add_f64_e32 v[26:27], v[64:65], v[28:29]
	s_delay_alu instid0(VALU_DEP_1) | instskip(SKIP_1) | instid1(VALU_DEP_2)
	v_add_f64_e64 v[24:25], v[26:27], -v[28:29]
	v_cmp_le_f64_e32 vcc_lo, 0.5, v[26:27]
	v_add_f64_e64 v[12:13], v[64:65], -v[24:25]
	v_cndmask_b32_e64 v101, 0, 0x3ff00000, vcc_lo
	v_add_co_ci_u32_e64 v80, null, 0, v2, vcc_lo
	s_delay_alu instid0(VALU_DEP_3) | instskip(NEXT) | instid1(VALU_DEP_3)
	v_add_f64_e32 v[8:9], v[8:9], v[12:13]
	v_add_f64_e64 v[12:13], v[26:27], -v[100:101]
	s_delay_alu instid0(VALU_DEP_1) | instskip(NEXT) | instid1(VALU_DEP_1)
	v_add_f64_e32 v[24:25], v[12:13], v[8:9]
	v_mul_f64_e32 v[26:27], 0x3ff921fb54442d18, v[24:25]
	v_add_f64_e64 v[12:13], v[24:25], -v[12:13]
	s_delay_alu instid0(VALU_DEP_2) | instskip(NEXT) | instid1(VALU_DEP_2)
	v_fma_f64 v[28:29], v[24:25], s[4:5], -v[26:27]
	v_add_f64_e64 v[8:9], v[8:9], -v[12:13]
	s_delay_alu instid0(VALU_DEP_2) | instskip(NEXT) | instid1(VALU_DEP_1)
	v_fmamk_f64 v[12:13], v[24:25], 0x3c91a62633145c07, v[28:29]
	v_fmac_f64_e32 v[12:13], 0x3ff921fb54442d18, v[8:9]
	s_delay_alu instid0(VALU_DEP_1) | instskip(NEXT) | instid1(VALU_DEP_1)
	v_add_f64_e32 v[24:25], v[26:27], v[12:13]
	v_add_f64_e64 v[8:9], v[24:25], -v[26:27]
	s_delay_alu instid0(VALU_DEP_1)
	v_add_f64_e64 v[28:29], v[12:13], -v[8:9]
.LBB1_74:
	s_or_saveexec_b32 s0, s0
	v_mul_f64_e64 v[8:9], s[8:9], s[8:9]
	s_xor_b32 exec_lo, exec_lo, s0
	s_cbranch_execz .LBB1_76
; %bb.75:
	v_mov_b64_e32 v[2:3], v[112:113]
	s_mov_b64 s[4:5], 0x3fe45f306dc9c883
	s_delay_alu instid0(VALU_DEP_1) | instid1(SALU_CYCLE_1)
	v_mul_f64_e64 v[12:13], |v[2:3]|, s[4:5]
	s_mov_b64 s[4:5], 0xbff921fb54442d18
	s_delay_alu instid0(VALU_DEP_1) | instskip(NEXT) | instid1(VALU_DEP_1)
	v_rndne_f64_e32 v[12:13], v[12:13]
	v_fma_f64 v[24:25], v[12:13], s[4:5], |v[2:3]|
	v_mul_f64_e32 v[26:27], 0xbc91a62633145c00, v[12:13]
	v_cvt_i32_f64_e32 v80, v[12:13]
	s_delay_alu instid0(VALU_DEP_3) | instskip(NEXT) | instid1(VALU_DEP_3)
	v_fmamk_f64 v[62:63], v[12:13], 0xbc91a62633145c00, v[24:25]
	v_add_f64_e32 v[28:29], v[24:25], v[26:27]
	s_delay_alu instid0(VALU_DEP_1) | instskip(NEXT) | instid1(VALU_DEP_3)
	v_add_f64_e64 v[60:61], v[24:25], -v[28:29]
	v_add_f64_e64 v[24:25], v[28:29], -v[62:63]
	s_delay_alu instid0(VALU_DEP_2) | instskip(SKIP_1) | instid1(VALU_DEP_2)
	v_add_f64_e32 v[28:29], v[60:61], v[26:27]
	v_fmamk_f64 v[26:27], v[12:13], 0x3c91a62633145c00, v[26:27]
	v_add_f64_e32 v[24:25], v[24:25], v[28:29]
	s_delay_alu instid0(VALU_DEP_1) | instskip(NEXT) | instid1(VALU_DEP_1)
	v_add_f64_e64 v[24:25], v[24:25], -v[26:27]
	v_fmamk_f64 v[26:27], v[12:13], 0xb97b839a252049c0, v[24:25]
	s_delay_alu instid0(VALU_DEP_1) | instskip(NEXT) | instid1(VALU_DEP_1)
	v_add_f64_e32 v[24:25], v[62:63], v[26:27]
	v_add_f64_e64 v[28:29], v[24:25], -v[62:63]
	s_delay_alu instid0(VALU_DEP_1)
	v_add_f64_e64 v[28:29], v[26:27], -v[28:29]
.LBB1_76:
	s_or_b32 exec_lo, exec_lo, s0
	v_dual_mul_f64 v[26:27], v[74:75], v[74:75] :: v_dual_bitop2_b32 v2, 1, v92 bitop3:0x40
	v_mov_b64_e32 v[96:97], 0x3e21eeb69037ab78
                                        ; implicit-def: $vgpr94_vgpr95
                                        ; implicit-def: $vgpr94_vgpr95
	;; [unrolled: 1-line block ×4, first 2 shown]
	v_cmp_class_f64_e64 s0, v[112:113], 0x1f8
	v_mul_f64_e32 v[94:95], 0.5, v[76:77]
	v_cmp_class_f64_e64 s1, v[114:115], 0x1f8
	v_cmp_eq_u32_e32 vcc_lo, 0, v2
	v_bfi_b32 v115, 0x7fffffff, v115, v35
	s_mov_b64 s[16:17], 0x3fe62e42fefa39ef
	s_mov_b32 s4, 0x3ff00000
	s_load_b64 s[12:13], s[12:13], 0x18
	s_mov_b32 s5, 0
	s_mov_b64 s[18:19], 0xbfe62e42fefa39ef
	s_mov_b64 s[22:23], 0x3fe45f306dc9c883
	;; [unrolled: 1-line block ×16, first 2 shown]
	s_get_pc_i64 s[56:57]
	s_add_nc_u64 s[56:57], s[56:57], _ZL6K2_tab@rel64+4
	v_lshlrev_b32_e32 v4, 30, v92
	v_mov_b64_e32 v[92:93], v[112:113]
	v_mul_f64_e32 v[12:13], 0.5, v[26:27]
	v_fmamk_f64 v[64:65], v[26:27], 0xbda907db46cc5e42, v[96:97]
	s_delay_alu instid0(VALU_DEP_4) | instskip(NEXT) | instid1(VALU_DEP_1)
	v_xor_b32_e32 v4, s15, v4
	v_and_b32_e32 v4, 0x80000000, v4
	s_delay_alu instid0(VALU_DEP_3) | instskip(NEXT) | instid1(VALU_DEP_1)
	v_fmaak_f64 v[64:65], v[26:27], v[64:65], 0xbe927e4fa17f65f6
	v_fmaak_f64 v[64:65], v[26:27], v[64:65], 0x3efa01a019f4ec90
	s_delay_alu instid0(VALU_DEP_1) | instskip(NEXT) | instid1(VALU_DEP_1)
	v_fmaak_f64 v[64:65], v[26:27], v[64:65], 0xbf56c16c16c16967
	v_fmaak_f64 v[64:65], v[26:27], v[64:65], 0x3fa5555555555555
	v_add_f64_e64 v[60:61], -v[12:13], 1.0
	s_delay_alu instid0(VALU_DEP_1) | instskip(NEXT) | instid1(VALU_DEP_1)
	v_add_f64_e64 v[62:63], -v[60:61], 1.0
	v_add_f64_e64 v[12:13], v[62:63], -v[12:13]
	v_mul_f64_e32 v[62:63], v[26:27], v[26:27]
	s_delay_alu instid0(VALU_DEP_2) | instskip(NEXT) | instid1(VALU_DEP_1)
	v_fma_f64 v[12:13], v[74:75], -v[76:77], v[12:13]
	v_fmac_f64_e32 v[12:13], v[62:63], v[64:65]
                                        ; implicit-def: $vgpr64_vgpr65
                                        ; implicit-def: $vgpr64_vgpr65
	;; [unrolled: 1-line block ×3, first 2 shown]
	v_mul_f64_e64 v[64:65], v[74:75], -v[26:27]
	s_delay_alu instid0(VALU_DEP_2) | instskip(SKIP_1) | instid1(VALU_DEP_1)
	v_add_f64_e32 v[60:61], v[60:61], v[12:13]
	v_mov_b64_e32 v[12:13], 0xbe5ae600b42fdfa7
	v_fmamk_f64 v[62:63], v[26:27], 0x3de5e0b2f9a43bb8, v[12:13]
	s_delay_alu instid0(VALU_DEP_1) | instskip(NEXT) | instid1(VALU_DEP_1)
	v_fmaak_f64 v[62:63], v[26:27], v[62:63], 0x3ec71de3796cde01
	v_fmaak_f64 v[62:63], v[26:27], v[62:63], 0xbf2a01a019e83e5c
	s_delay_alu instid0(VALU_DEP_1) | instskip(NEXT) | instid1(VALU_DEP_1)
	v_fmaak_f64 v[62:63], v[26:27], v[62:63], 0x3f81111111110bb3
	v_fmac_f64_e32 v[94:95], v[64:65], v[62:63]
	s_delay_alu instid0(VALU_DEP_1) | instskip(NEXT) | instid1(VALU_DEP_1)
	v_fma_f64 v[26:27], v[26:27], v[94:95], -v[76:77]
	v_fmac_f64_e32 v[26:27], 0xbfc5555555555555, v[64:65]
	s_delay_alu instid0(VALU_DEP_1) | instskip(NEXT) | instid1(VALU_DEP_1)
	v_add_f64_e64 v[26:27], v[74:75], -v[26:27]
	v_cndmask_b32_e32 v2, v60, v26, vcc_lo
	s_delay_alu instid0(VALU_DEP_1) | instskip(SKIP_2) | instid1(VALU_DEP_1)
	v_dual_cndmask_b32 v26, 0, v2, s2 :: v_dual_cndmask_b32 v3, v61, v27, vcc_lo
	v_mul_f64_e32 v[60:61], v[22:23], v[22:23]
	v_and_b32_e32 v2, 1, v11
	v_cmp_eq_u32_e32 vcc_lo, 0, v2
	s_delay_alu instid0(VALU_DEP_3) | instskip(SKIP_1) | instid1(VALU_DEP_1)
	v_mul_f64_e32 v[62:63], 0.5, v[60:61]
	v_fmamk_f64 v[76:77], v[60:61], 0xbda907db46cc5e42, v[96:97]
	v_fmaak_f64 v[76:77], v[60:61], v[76:77], 0xbe927e4fa17f65f6
	s_delay_alu instid0(VALU_DEP_1) | instskip(NEXT) | instid1(VALU_DEP_1)
	v_fmaak_f64 v[76:77], v[60:61], v[76:77], 0x3efa01a019f4ec90
	v_fmaak_f64 v[76:77], v[60:61], v[76:77], 0xbf56c16c16c16967
	s_delay_alu instid0(VALU_DEP_1) | instskip(SKIP_1) | instid1(VALU_DEP_1)
	v_fmaak_f64 v[76:77], v[60:61], v[76:77], 0x3fa5555555555555
	v_add_f64_e64 v[64:65], -v[62:63], 1.0
	v_add_f64_e64 v[74:75], -v[64:65], 1.0
	s_delay_alu instid0(VALU_DEP_1) | instskip(SKIP_1) | instid1(VALU_DEP_2)
	v_add_f64_e64 v[62:63], v[74:75], -v[62:63]
	v_mul_f64_e32 v[74:75], v[60:61], v[60:61]
	v_fma_f64 v[62:63], v[22:23], -v[72:73], v[62:63]
	s_delay_alu instid0(VALU_DEP_1) | instskip(SKIP_2) | instid1(VALU_DEP_1)
	v_fmac_f64_e32 v[62:63], v[74:75], v[76:77]
	v_xor_b32_e32 v3, v3, v4
	v_dual_mul_f64 v[74:75], v[22:23], -v[60:61] :: v_dual_lshlrev_b32 v4, 30, v11
	v_xor_b32_e32 v4, v4, v115
	s_delay_alu instid0(VALU_DEP_4) | instskip(SKIP_3) | instid1(VALU_DEP_2)
	v_add_f64_e32 v[62:63], v[64:65], v[62:63]
	v_mul_f64_e32 v[76:77], 0.5, v[72:73]
	v_fmamk_f64 v[64:65], v[60:61], 0x3de5e0b2f9a43bb8, v[12:13]
	v_cndmask_b32_e64 v27, 0x7ff80000, v3, s2
	v_fmaak_f64 v[64:65], v[60:61], v[64:65], 0x3ec71de3796cde01
	s_delay_alu instid0(VALU_DEP_1) | instskip(NEXT) | instid1(VALU_DEP_1)
	v_fmaak_f64 v[64:65], v[60:61], v[64:65], 0xbf2a01a019e83e5c
	v_fmaak_f64 v[64:65], v[60:61], v[64:65], 0x3f81111111110bb3
	s_delay_alu instid0(VALU_DEP_1) | instskip(NEXT) | instid1(VALU_DEP_1)
	v_fmac_f64_e32 v[76:77], v[74:75], v[64:65]
	v_fma_f64 v[60:61], v[60:61], v[76:77], -v[72:73]
	s_delay_alu instid0(VALU_DEP_1) | instskip(NEXT) | instid1(VALU_DEP_1)
	v_fmac_f64_e32 v[60:61], 0xbfc5555555555555, v[74:75]
	v_add_f64_e64 v[22:23], v[22:23], -v[60:61]
	v_fma_f64 v[60:61], v[110:111], v[110:111], v[8:9]
	s_delay_alu instid0(VALU_DEP_2) | instskip(NEXT) | instid1(VALU_DEP_2)
	v_dual_cndmask_b32 v2, v62, v22 :: v_dual_cndmask_b32 v3, v63, v23
	v_cmp_gt_f64_e32 vcc_lo, 0x10000000, v[60:61]
	s_delay_alu instid0(VALU_DEP_2) | instskip(NEXT) | instid1(VALU_DEP_3)
	v_cndmask_b32_e64 v22, 0, v2, s1
	v_bitop3_b32 v3, v3, v4, 0x80000000 bitop3:0x78
	v_lshlrev_b32_e32 v4, 30, v10
	s_delay_alu instid0(VALU_DEP_2) | instskip(NEXT) | instid1(VALU_DEP_1)
	v_cndmask_b32_e64 v23, 0x7ff80000, v3, s1
	v_dual_mul_f64 v[26:27], -v[26:27], v[22:23] :: v_dual_bitop2_b32 v4, v4, v93 bitop3:0x14
	v_mul_f64_e32 v[22:23], v[110:111], v[110:111]
	v_cndmask_b32_e64 v2, 0, 0x100, vcc_lo
	s_delay_alu instid0(VALU_DEP_1) | instskip(SKIP_1) | instid1(VALU_DEP_2)
	v_ldexp_f64 v[60:61], v[60:61], v2
	v_cndmask_b32_e64 v2, 0, 0xffffff80, vcc_lo
	v_rsq_f64_e32 v[62:63], v[60:61]
	v_cmp_class_f64_e64 vcc_lo, v[60:61], 0x260
	s_delay_alu instid0(TRANS32_DEP_1) | instskip(SKIP_1) | instid1(VALU_DEP_1)
	v_mul_f64_e32 v[64:65], v[60:61], v[62:63]
	v_mul_f64_e32 v[62:63], 0.5, v[62:63]
	v_fma_f64 v[72:73], -v[62:63], v[64:65], 0.5
	s_delay_alu instid0(VALU_DEP_1) | instskip(SKIP_1) | instid1(VALU_DEP_2)
	v_fmac_f64_e32 v[64:65], v[64:65], v[72:73]
	v_fmac_f64_e32 v[62:63], v[62:63], v[72:73]
	v_fma_f64 v[74:75], -v[64:65], v[64:65], v[60:61]
	s_delay_alu instid0(VALU_DEP_1) | instskip(NEXT) | instid1(VALU_DEP_1)
	v_fmac_f64_e32 v[64:65], v[74:75], v[62:63]
	v_fma_f64 v[72:73], -v[64:65], v[64:65], v[60:61]
	s_delay_alu instid0(VALU_DEP_1) | instskip(NEXT) | instid1(VALU_DEP_1)
	v_fmac_f64_e32 v[64:65], v[72:73], v[62:63]
	v_ldexp_f64 v[62:63], v[64:65], v2
	s_delay_alu instid0(VALU_DEP_1) | instskip(NEXT) | instid1(VALU_DEP_2)
	v_dual_cndmask_b32 v61, v63, v61, vcc_lo :: v_dual_bitop2_b32 v2, 1, v10 bitop3:0x40
	v_cndmask_b32_e32 v60, v62, v60, vcc_lo
	v_mul_f64_e32 v[62:63], v[6:7], v[6:7]
	s_delay_alu instid0(VALU_DEP_3) | instskip(NEXT) | instid1(VALU_DEP_2)
	v_cmp_eq_u32_e32 vcc_lo, 0, v2
	v_mul_f64_e32 v[64:65], 0.5, v[62:63]
	v_fmamk_f64 v[76:77], v[62:63], 0xbda907db46cc5e42, v[96:97]
	s_delay_alu instid0(VALU_DEP_1) | instskip(NEXT) | instid1(VALU_DEP_1)
	v_fmaak_f64 v[76:77], v[62:63], v[76:77], 0xbe927e4fa17f65f6
	v_fmaak_f64 v[76:77], v[62:63], v[76:77], 0x3efa01a019f4ec90
	s_delay_alu instid0(VALU_DEP_1) | instskip(NEXT) | instid1(VALU_DEP_1)
	v_fmaak_f64 v[76:77], v[62:63], v[76:77], 0xbf56c16c16c16967
	v_fmaak_f64 v[76:77], v[62:63], v[76:77], 0x3fa5555555555555
	v_add_f64_e64 v[72:73], -v[64:65], 1.0
	s_delay_alu instid0(VALU_DEP_1) | instskip(NEXT) | instid1(VALU_DEP_1)
	v_add_f64_e64 v[74:75], -v[72:73], 1.0
	v_add_f64_e64 v[64:65], v[74:75], -v[64:65]
	v_mul_f64_e32 v[74:75], v[62:63], v[62:63]
	s_delay_alu instid0(VALU_DEP_2) | instskip(NEXT) | instid1(VALU_DEP_1)
	v_fma_f64 v[64:65], v[6:7], -v[70:71], v[64:65]
	v_fmac_f64_e32 v[64:65], v[74:75], v[76:77]
	v_mul_f64_e64 v[74:75], v[6:7], -v[62:63]
	v_mul_f64_e32 v[76:77], 0.5, v[70:71]
	s_delay_alu instid0(VALU_DEP_3) | instskip(SKIP_1) | instid1(VALU_DEP_1)
	v_add_f64_e32 v[64:65], v[72:73], v[64:65]
	v_fmamk_f64 v[72:73], v[62:63], 0x3de5e0b2f9a43bb8, v[12:13]
	v_fmaak_f64 v[72:73], v[62:63], v[72:73], 0x3ec71de3796cde01
	s_delay_alu instid0(VALU_DEP_1) | instskip(NEXT) | instid1(VALU_DEP_1)
	v_fmaak_f64 v[72:73], v[62:63], v[72:73], 0xbf2a01a019e83e5c
	v_fmaak_f64 v[72:73], v[62:63], v[72:73], 0x3f81111111110bb3
	s_delay_alu instid0(VALU_DEP_1) | instskip(NEXT) | instid1(VALU_DEP_1)
	v_fmac_f64_e32 v[76:77], v[74:75], v[72:73]
	v_fma_f64 v[62:63], v[62:63], v[76:77], -v[70:71]
	s_delay_alu instid0(VALU_DEP_1) | instskip(SKIP_1) | instid1(VALU_DEP_2)
	v_fmac_f64_e32 v[62:63], 0xbfc5555555555555, v[74:75]
	v_mov_b64_e32 v[74:75], v[110:111]
	v_add_f64_e64 v[6:7], v[6:7], -v[62:63]
	s_delay_alu instid0(VALU_DEP_1) | instskip(NEXT) | instid1(VALU_DEP_1)
	v_dual_cndmask_b32 v3, v65, v7 :: v_dual_cndmask_b32 v2, v64, v6
	v_bitop3_b32 v3, v3, v4, 0x80000000 bitop3:0x78
	s_delay_alu instid0(VALU_DEP_2) | instskip(NEXT) | instid1(VALU_DEP_2)
	v_dual_cndmask_b32 v6, 0, v2, s0 :: v_dual_lshlrev_b32 v4, 30, v91
	v_cndmask_b32_e64 v7, 0x7ff80000, v3, s0
	v_and_b32_e32 v3, 1, v91
	s_delay_alu instid0(VALU_DEP_3) | instskip(NEXT) | instid1(VALU_DEP_3)
	v_and_b32_e32 v4, 0x80000000, v4
	v_mul_f64_e32 v[6:7], v[60:61], v[6:7]
	s_delay_alu instid0(VALU_DEP_1) | instskip(NEXT) | instid1(VALU_DEP_1)
	v_div_scale_f64 v[10:11], null, v[6:7], v[6:7], v[26:27]
	v_rcp_f64_e32 v[62:63], v[10:11]
	v_nop
	s_delay_alu instid0(TRANS32_DEP_1) | instskip(NEXT) | instid1(VALU_DEP_1)
	v_fma_f64 v[64:65], -v[10:11], v[62:63], 1.0
	v_fmac_f64_e32 v[62:63], v[62:63], v[64:65]
	s_delay_alu instid0(VALU_DEP_1) | instskip(NEXT) | instid1(VALU_DEP_1)
	v_fma_f64 v[64:65], -v[10:11], v[62:63], 1.0
	v_fmac_f64_e32 v[62:63], v[62:63], v[64:65]
	v_div_scale_f64 v[64:65], vcc_lo, v[26:27], v[6:7], v[26:27]
	s_delay_alu instid0(VALU_DEP_1) | instskip(NEXT) | instid1(VALU_DEP_1)
	v_mul_f64_e32 v[70:71], v[64:65], v[62:63]
	v_fma_f64 v[10:11], -v[10:11], v[70:71], v[64:65]
	s_delay_alu instid0(VALU_DEP_1) | instskip(SKIP_1) | instid1(VALU_DEP_2)
	v_div_fmas_f64 v[10:11], v[10:11], v[62:63], v[70:71]
	v_cmp_eq_u32_e32 vcc_lo, 0, v3
	v_div_fixup_f64 v[26:27], v[10:11], v[6:7], v[26:27]
	v_mul_f64_e32 v[6:7], v[66:67], v[66:67]
	s_delay_alu instid0(VALU_DEP_1) | instskip(SKIP_1) | instid1(VALU_DEP_1)
	v_mul_f64_e32 v[10:11], 0.5, v[6:7]
	v_fmamk_f64 v[70:71], v[6:7], 0xbda907db46cc5e42, v[96:97]
	v_fmaak_f64 v[70:71], v[6:7], v[70:71], 0xbe927e4fa17f65f6
	s_delay_alu instid0(VALU_DEP_1) | instskip(NEXT) | instid1(VALU_DEP_1)
	v_fmaak_f64 v[70:71], v[6:7], v[70:71], 0x3efa01a019f4ec90
	v_fmaak_f64 v[70:71], v[6:7], v[70:71], 0xbf56c16c16c16967
	s_delay_alu instid0(VALU_DEP_1) | instskip(SKIP_1) | instid1(VALU_DEP_1)
	v_fmaak_f64 v[70:71], v[6:7], v[70:71], 0x3fa5555555555555
	v_add_f64_e64 v[62:63], -v[10:11], 1.0
	v_add_f64_e64 v[64:65], -v[62:63], 1.0
	s_delay_alu instid0(VALU_DEP_1) | instskip(SKIP_1) | instid1(VALU_DEP_2)
	v_add_f64_e64 v[10:11], v[64:65], -v[10:11]
	v_mul_f64_e32 v[64:65], v[6:7], v[6:7]
	v_fma_f64 v[10:11], v[66:67], -v[68:69], v[10:11]
	s_delay_alu instid0(VALU_DEP_1) | instskip(SKIP_1) | instid1(VALU_DEP_2)
	v_fmac_f64_e32 v[10:11], v[64:65], v[70:71]
	v_mul_f64_e64 v[64:65], v[66:67], -v[6:7]
	v_add_f64_e32 v[62:63], v[62:63], v[10:11]
	v_fmamk_f64 v[10:11], v[6:7], 0x3de5e0b2f9a43bb8, v[12:13]
	s_delay_alu instid0(VALU_DEP_1) | instskip(NEXT) | instid1(VALU_DEP_1)
	v_fmaak_f64 v[10:11], v[6:7], v[10:11], 0x3ec71de3796cde01
	v_fmaak_f64 v[10:11], v[6:7], v[10:11], 0xbf2a01a019e83e5c
	s_delay_alu instid0(VALU_DEP_1) | instskip(SKIP_1) | instid1(VALU_DEP_1)
	v_fmaak_f64 v[70:71], v[6:7], v[10:11], 0x3f81111111110bb3
	v_mul_f64_e32 v[10:11], 0.5, v[68:69]
	v_fmac_f64_e32 v[10:11], v[64:65], v[70:71]
	s_delay_alu instid0(VALU_DEP_1) | instskip(SKIP_1) | instid1(VALU_DEP_2)
	v_fma_f64 v[6:7], v[6:7], v[10:11], -v[68:69]
	v_mul_f64_e32 v[10:11], v[30:31], v[30:31]
	v_fmac_f64_e32 v[6:7], 0xbfc5555555555555, v[64:65]
	s_delay_alu instid0(VALU_DEP_2) | instskip(NEXT) | instid1(VALU_DEP_1)
	v_fmamk_f64 v[68:69], v[10:11], 0xbda907db46cc5e42, v[96:97]
	v_fmaak_f64 v[68:69], v[10:11], v[68:69], 0xbe927e4fa17f65f6
	s_delay_alu instid0(VALU_DEP_1) | instskip(NEXT) | instid1(VALU_DEP_1)
	v_fmaak_f64 v[68:69], v[10:11], v[68:69], 0x3efa01a019f4ec90
	v_fmaak_f64 v[68:69], v[10:11], v[68:69], 0xbf56c16c16c16967
	s_delay_alu instid0(VALU_DEP_1) | instskip(SKIP_1) | instid1(VALU_DEP_1)
	v_fmaak_f64 v[68:69], v[10:11], v[68:69], 0x3fa5555555555555
	v_add_f64_e64 v[6:7], v[66:67], -v[6:7]
	v_xor_b32_e32 v2, 0x80000000, v7
	s_delay_alu instid0(VALU_DEP_2) | instskip(NEXT) | instid1(VALU_DEP_2)
	v_cndmask_b32_e32 v3, v6, v62, vcc_lo
	v_cndmask_b32_e32 v2, v2, v63, vcc_lo
	s_delay_alu instid0(VALU_DEP_1) | instskip(SKIP_1) | instid1(VALU_DEP_2)
	v_dual_mul_f64 v[62:63], 0.5, v[10:11] :: v_dual_bitop2_b32 v2, v2, v4 bitop3:0x14
	v_lshlrev_b32_e32 v4, 30, v86
	v_cndmask_b32_e64 v7, 0x7ff80000, v2, s2
	v_and_b32_e32 v2, 1, v86
	s_delay_alu instid0(VALU_DEP_3) | instskip(SKIP_1) | instid1(VALU_DEP_2)
	v_xor_b32_e32 v4, s15, v4
	s_mov_b64 s[14:15], 0x3fe5555555555555
	v_cmp_eq_u32_e32 vcc_lo, 0, v2
	s_delay_alu instid0(VALU_DEP_2) | instskip(SKIP_1) | instid1(VALU_DEP_1)
	v_and_b32_e32 v4, 0x80000000, v4
	v_add_f64_e64 v[64:65], -v[62:63], 1.0
	v_add_f64_e64 v[66:67], -v[64:65], 1.0
	s_delay_alu instid0(VALU_DEP_1) | instskip(SKIP_2) | instid1(VALU_DEP_3)
	v_add_f64_e64 v[62:63], v[66:67], -v[62:63]
	v_cndmask_b32_e64 v6, 0, v3, s2
	v_mul_f64_e32 v[66:67], v[10:11], v[10:11]
	v_fma_f64 v[62:63], v[30:31], -v[36:37], v[62:63]
	s_delay_alu instid0(VALU_DEP_3) | instskip(NEXT) | instid1(VALU_DEP_2)
	v_mul_f64_e32 v[6:7], v[110:111], v[6:7]
	v_fmac_f64_e32 v[62:63], v[66:67], v[68:69]
	v_mul_f64_e64 v[66:67], v[30:31], -v[10:11]
	v_mul_f64_e32 v[68:69], 0.5, v[36:37]
	s_delay_alu instid0(VALU_DEP_3) | instskip(SKIP_1) | instid1(VALU_DEP_1)
	v_add_f64_e32 v[62:63], v[64:65], v[62:63]
	v_fmamk_f64 v[64:65], v[10:11], 0x3de5e0b2f9a43bb8, v[12:13]
	v_fmaak_f64 v[64:65], v[10:11], v[64:65], 0x3ec71de3796cde01
	s_delay_alu instid0(VALU_DEP_1) | instskip(NEXT) | instid1(VALU_DEP_1)
	v_fmaak_f64 v[64:65], v[10:11], v[64:65], 0xbf2a01a019e83e5c
	v_fmaak_f64 v[64:65], v[10:11], v[64:65], 0x3f81111111110bb3
	s_delay_alu instid0(VALU_DEP_1) | instskip(NEXT) | instid1(VALU_DEP_1)
	v_fmac_f64_e32 v[68:69], v[66:67], v[64:65]
	v_fma_f64 v[10:11], v[10:11], v[68:69], -v[36:37]
	s_delay_alu instid0(VALU_DEP_1) | instskip(NEXT) | instid1(VALU_DEP_1)
	v_fmac_f64_e32 v[10:11], 0xbfc5555555555555, v[66:67]
	v_add_f64_e64 v[10:11], v[30:31], -v[10:11]
	s_delay_alu instid0(VALU_DEP_1) | instskip(SKIP_1) | instid1(VALU_DEP_2)
	v_dual_cndmask_b32 v2, v62, v10 :: v_dual_cndmask_b32 v3, v63, v11
	v_mul_f64_e32 v[10:11], v[50:51], v[50:51]
	v_dual_lshlrev_b32 v4, 30, v87 :: v_dual_bitop2_b32 v3, v3, v4 bitop3:0x14
	s_delay_alu instid0(VALU_DEP_1) | instskip(SKIP_1) | instid1(VALU_DEP_1)
	v_cndmask_b32_e64 v31, 0x7ff80000, v3, s2
	v_and_b32_e32 v3, 1, v87
	v_cmp_eq_u32_e32 vcc_lo, 0, v3
	v_mul_f64_e32 v[36:37], 0.5, v[10:11]
	v_fmamk_f64 v[66:67], v[10:11], 0xbda907db46cc5e42, v[96:97]
	s_delay_alu instid0(VALU_DEP_1) | instskip(NEXT) | instid1(VALU_DEP_1)
	v_fmaak_f64 v[66:67], v[10:11], v[66:67], 0xbe927e4fa17f65f6
	v_fmaak_f64 v[66:67], v[10:11], v[66:67], 0x3efa01a019f4ec90
	s_delay_alu instid0(VALU_DEP_1) | instskip(NEXT) | instid1(VALU_DEP_1)
	v_fmaak_f64 v[66:67], v[10:11], v[66:67], 0xbf56c16c16c16967
	v_fmaak_f64 v[66:67], v[10:11], v[66:67], 0x3fa5555555555555
	v_add_f64_e64 v[62:63], -v[36:37], 1.0
	s_delay_alu instid0(VALU_DEP_1) | instskip(NEXT) | instid1(VALU_DEP_1)
	v_add_f64_e64 v[64:65], -v[62:63], 1.0
	v_dual_add_f64 v[36:37], v[64:65], -v[36:37] :: v_dual_cndmask_b32 v30, 0, v2, s2
	v_mul_f64_e32 v[64:65], v[10:11], v[10:11]
	s_delay_alu instid0(VALU_DEP_2) | instskip(NEXT) | instid1(VALU_DEP_1)
	v_fma_f64 v[36:37], v[50:51], -v[52:53], v[36:37]
	v_fmac_f64_e32 v[36:37], v[64:65], v[66:67]
	v_mul_f64_e64 v[64:65], v[50:51], -v[10:11]
	v_mul_f64_e32 v[66:67], 0.5, v[52:53]
	s_delay_alu instid0(VALU_DEP_3) | instskip(SKIP_1) | instid1(VALU_DEP_1)
	v_add_f64_e32 v[36:37], v[62:63], v[36:37]
	v_fmamk_f64 v[62:63], v[10:11], 0x3de5e0b2f9a43bb8, v[12:13]
	v_fmaak_f64 v[62:63], v[10:11], v[62:63], 0x3ec71de3796cde01
	s_delay_alu instid0(VALU_DEP_1) | instskip(NEXT) | instid1(VALU_DEP_1)
	v_fmaak_f64 v[62:63], v[10:11], v[62:63], 0xbf2a01a019e83e5c
	v_fmaak_f64 v[62:63], v[10:11], v[62:63], 0x3f81111111110bb3
	s_delay_alu instid0(VALU_DEP_1) | instskip(NEXT) | instid1(VALU_DEP_1)
	v_fmac_f64_e32 v[66:67], v[64:65], v[62:63]
	v_fma_f64 v[10:11], v[10:11], v[66:67], -v[52:53]
	s_delay_alu instid0(VALU_DEP_1) | instskip(NEXT) | instid1(VALU_DEP_1)
	v_fmac_f64_e32 v[10:11], 0xbfc5555555555555, v[64:65]
	v_add_f64_e64 v[10:11], v[50:51], -v[10:11]
	s_delay_alu instid0(VALU_DEP_1) | instskip(NEXT) | instid1(VALU_DEP_2)
	v_xor_b32_e32 v2, 0x80000000, v11
	v_cndmask_b32_e32 v3, v10, v36, vcc_lo
	s_delay_alu instid0(VALU_DEP_1) | instskip(SKIP_1) | instid1(VALU_DEP_2)
	v_dual_cndmask_b32 v2, v2, v37, vcc_lo :: v_dual_cndmask_b32 v10, 0, v3, s1
	v_and_b32_e32 v3, 1, v81
	v_bitop3_b32 v2, v2, v4, 0x80000000 bitop3:0x78
	v_lshlrev_b32_e32 v4, 30, v81
	s_delay_alu instid0(VALU_DEP_2) | instskip(NEXT) | instid1(VALU_DEP_1)
	v_cndmask_b32_e64 v11, 0x7ff80000, v2, s1
	v_dual_mul_f64 v[50:51], -v[30:31], v[10:11] :: v_dual_bitop2_b32 v2, 1, v89 bitop3:0x40
	v_mul_f64_e32 v[10:11], v[0:1], v[0:1]
	s_delay_alu instid0(VALU_DEP_2) | instskip(SKIP_1) | instid1(VALU_DEP_1)
	v_cmp_eq_u32_e32 vcc_lo, 0, v2
	v_lshlrev_b32_e32 v2, 30, v89
	v_dual_mul_f64 v[30:31], 0.5, v[10:11] :: v_dual_bitop2_b32 v2, v2, v93 bitop3:0x14
	v_fmamk_f64 v[62:63], v[10:11], 0xbda907db46cc5e42, v[96:97]
	s_delay_alu instid0(VALU_DEP_1) | instskip(NEXT) | instid1(VALU_DEP_1)
	v_fmaak_f64 v[62:63], v[10:11], v[62:63], 0xbe927e4fa17f65f6
	v_fmaak_f64 v[62:63], v[10:11], v[62:63], 0x3efa01a019f4ec90
	s_delay_alu instid0(VALU_DEP_1) | instskip(NEXT) | instid1(VALU_DEP_1)
	v_fmaak_f64 v[62:63], v[10:11], v[62:63], 0xbf56c16c16c16967
	v_fmaak_f64 v[62:63], v[10:11], v[62:63], 0x3fa5555555555555
	v_add_f64_e64 v[36:37], -v[30:31], 1.0
	s_delay_alu instid0(VALU_DEP_1) | instskip(NEXT) | instid1(VALU_DEP_1)
	v_add_f64_e64 v[52:53], -v[36:37], 1.0
	v_add_f64_e64 v[30:31], v[52:53], -v[30:31]
	v_mul_f64_e32 v[52:53], v[10:11], v[10:11]
	s_delay_alu instid0(VALU_DEP_2) | instskip(NEXT) | instid1(VALU_DEP_1)
	v_fma_f64 v[30:31], v[0:1], -v[58:59], v[30:31]
	v_fmac_f64_e32 v[30:31], v[52:53], v[62:63]
	v_mul_f64_e64 v[52:53], v[0:1], -v[10:11]
	v_mul_f64_e32 v[62:63], 0.5, v[58:59]
	s_delay_alu instid0(VALU_DEP_3) | instskip(SKIP_1) | instid1(VALU_DEP_1)
	v_add_f64_e32 v[30:31], v[36:37], v[30:31]
	v_fmamk_f64 v[36:37], v[10:11], 0x3de5e0b2f9a43bb8, v[12:13]
	v_fmaak_f64 v[36:37], v[10:11], v[36:37], 0x3ec71de3796cde01
	s_delay_alu instid0(VALU_DEP_1) | instskip(NEXT) | instid1(VALU_DEP_1)
	v_fmaak_f64 v[36:37], v[10:11], v[36:37], 0xbf2a01a019e83e5c
	v_fmaak_f64 v[36:37], v[10:11], v[36:37], 0x3f81111111110bb3
	s_delay_alu instid0(VALU_DEP_1) | instskip(SKIP_1) | instid1(VALU_DEP_2)
	v_fmac_f64_e32 v[62:63], v[52:53], v[36:37]
	v_mul_f64_e32 v[36:37], v[60:61], v[50:51]
	v_fma_f64 v[10:11], v[10:11], v[62:63], -v[58:59]
	s_delay_alu instid0(VALU_DEP_1) | instskip(NEXT) | instid1(VALU_DEP_1)
	v_fmac_f64_e32 v[10:11], 0xbfc5555555555555, v[52:53]
	v_add_f64_e64 v[0:1], v[0:1], -v[10:11]
	v_mul_f64_e32 v[10:11], v[14:15], v[14:15]
	s_delay_alu instid0(VALU_DEP_2) | instskip(NEXT) | instid1(VALU_DEP_2)
	v_dual_cndmask_b32 v0, v30, v0 :: v_dual_cndmask_b32 v1, v31, v1
	v_mul_f64_e32 v[30:31], 0.5, v[10:11]
	v_fmamk_f64 v[62:63], v[10:11], 0xbda907db46cc5e42, v[96:97]
	v_cmp_eq_u32_e32 vcc_lo, 0, v3
	s_delay_alu instid0(VALU_DEP_4) | instskip(SKIP_1) | instid1(VALU_DEP_4)
	v_cndmask_b32_e64 v0, 0, v0, s0
	v_bitop3_b32 v1, v1, v2, 0x80000000 bitop3:0x78
	v_fmaak_f64 v[62:63], v[10:11], v[62:63], 0xbe927e4fa17f65f6
	s_delay_alu instid0(VALU_DEP_2) | instskip(NEXT) | instid1(VALU_DEP_2)
	v_cndmask_b32_e64 v1, 0x7ff80000, v1, s0
	v_fmaak_f64 v[62:63], v[10:11], v[62:63], 0x3efa01a019f4ec90
	s_delay_alu instid0(VALU_DEP_1) | instskip(NEXT) | instid1(VALU_DEP_1)
	v_fmaak_f64 v[62:63], v[10:11], v[62:63], 0xbf56c16c16c16967
	v_fmaak_f64 v[62:63], v[10:11], v[62:63], 0x3fa5555555555555
	v_add_f64_e64 v[52:53], -v[30:31], 1.0
	s_delay_alu instid0(VALU_DEP_1) | instskip(NEXT) | instid1(VALU_DEP_1)
	v_add_f64_e64 v[58:59], -v[52:53], 1.0
	v_add_f64_e64 v[30:31], v[58:59], -v[30:31]
	v_mul_f64_e32 v[58:59], v[10:11], v[10:11]
	s_delay_alu instid0(VALU_DEP_2) | instskip(NEXT) | instid1(VALU_DEP_1)
	v_fma_f64 v[30:31], v[14:15], -v[16:17], v[30:31]
	v_fmac_f64_e32 v[30:31], v[58:59], v[62:63]
	v_mul_f64_e64 v[58:59], v[14:15], -v[10:11]
	s_delay_alu instid0(VALU_DEP_2) | instskip(SKIP_2) | instid1(VALU_DEP_1)
	v_add_f64_e32 v[30:31], v[52:53], v[30:31]
	v_mul_f64_e32 v[62:63], 0.5, v[16:17]
	v_fmamk_f64 v[52:53], v[10:11], 0x3de5e0b2f9a43bb8, v[12:13]
	v_fmaak_f64 v[52:53], v[10:11], v[52:53], 0x3ec71de3796cde01
	s_delay_alu instid0(VALU_DEP_1) | instskip(NEXT) | instid1(VALU_DEP_1)
	v_fmaak_f64 v[52:53], v[10:11], v[52:53], 0xbf2a01a019e83e5c
	v_fmaak_f64 v[52:53], v[10:11], v[52:53], 0x3f81111111110bb3
	s_delay_alu instid0(VALU_DEP_1) | instskip(NEXT) | instid1(VALU_DEP_1)
	v_fmac_f64_e32 v[62:63], v[58:59], v[52:53]
	v_fma_f64 v[10:11], v[10:11], v[62:63], -v[16:17]
	s_delay_alu instid0(VALU_DEP_1) | instskip(NEXT) | instid1(VALU_DEP_1)
	v_fmac_f64_e32 v[10:11], 0xbfc5555555555555, v[58:59]
	v_add_f64_e64 v[10:11], v[14:15], -v[10:11]
	s_delay_alu instid0(VALU_DEP_1) | instskip(NEXT) | instid1(VALU_DEP_2)
	v_xor_b32_e32 v2, 0x80000000, v11
	v_cndmask_b32_e32 v3, v10, v30, vcc_lo
	s_delay_alu instid0(VALU_DEP_2) | instskip(NEXT) | instid1(VALU_DEP_2)
	v_cndmask_b32_e32 v2, v2, v31, vcc_lo
	v_dual_cndmask_b32 v10, 0, v3, s0 :: v_dual_bitop2_b32 v3, 1, v82 bitop3:0x40
	s_delay_alu instid0(VALU_DEP_2) | instskip(SKIP_1) | instid1(VALU_DEP_3)
	v_bitop3_b32 v2, v2, v4, 0x80000000 bitop3:0x78
	v_lshlrev_b32_e32 v4, 30, v82
	v_cmp_eq_u32_e32 vcc_lo, 0, v3
	s_delay_alu instid0(VALU_DEP_3) | instskip(NEXT) | instid1(VALU_DEP_1)
	v_cndmask_b32_e64 v11, 0x7ff80000, v2, s0
	v_mul_f64_e32 v[14:15], s[8:9], v[10:11]
	v_mul_f64_e32 v[10:11], v[18:19], v[18:19]
	s_delay_alu instid0(VALU_DEP_1) | instskip(SKIP_1) | instid1(VALU_DEP_1)
	v_mul_f64_e32 v[16:17], 0.5, v[10:11]
	v_fmamk_f64 v[58:59], v[10:11], 0xbda907db46cc5e42, v[96:97]
	v_fmaak_f64 v[58:59], v[10:11], v[58:59], 0xbe927e4fa17f65f6
	s_delay_alu instid0(VALU_DEP_1) | instskip(NEXT) | instid1(VALU_DEP_1)
	v_fmaak_f64 v[58:59], v[10:11], v[58:59], 0x3efa01a019f4ec90
	v_fmaak_f64 v[58:59], v[10:11], v[58:59], 0xbf56c16c16c16967
	s_delay_alu instid0(VALU_DEP_1) | instskip(SKIP_1) | instid1(VALU_DEP_1)
	v_fmaak_f64 v[58:59], v[10:11], v[58:59], 0x3fa5555555555555
	v_add_f64_e64 v[30:31], -v[16:17], 1.0
	v_add_f64_e64 v[52:53], -v[30:31], 1.0
	s_delay_alu instid0(VALU_DEP_1) | instskip(SKIP_1) | instid1(VALU_DEP_2)
	v_add_f64_e64 v[16:17], v[52:53], -v[16:17]
	v_mul_f64_e32 v[52:53], v[10:11], v[10:11]
	v_fma_f64 v[16:17], v[18:19], -v[20:21], v[16:17]
	s_delay_alu instid0(VALU_DEP_1) | instskip(SKIP_2) | instid1(VALU_DEP_3)
	v_fmac_f64_e32 v[16:17], v[52:53], v[58:59]
	v_mul_f64_e64 v[52:53], v[18:19], -v[10:11]
	v_mul_f64_e32 v[58:59], 0.5, v[20:21]
	v_add_f64_e32 v[16:17], v[30:31], v[16:17]
	v_fmamk_f64 v[30:31], v[10:11], 0x3de5e0b2f9a43bb8, v[12:13]
	s_delay_alu instid0(VALU_DEP_1) | instskip(NEXT) | instid1(VALU_DEP_1)
	v_fmaak_f64 v[30:31], v[10:11], v[30:31], 0x3ec71de3796cde01
	v_fmaak_f64 v[30:31], v[10:11], v[30:31], 0xbf2a01a019e83e5c
	s_delay_alu instid0(VALU_DEP_1) | instskip(NEXT) | instid1(VALU_DEP_1)
	v_fmaak_f64 v[30:31], v[10:11], v[30:31], 0x3f81111111110bb3
	v_fmac_f64_e32 v[58:59], v[52:53], v[30:31]
	s_delay_alu instid0(VALU_DEP_1) | instskip(NEXT) | instid1(VALU_DEP_1)
	v_fma_f64 v[10:11], v[10:11], v[58:59], -v[20:21]
	v_fmac_f64_e32 v[10:11], 0xbfc5555555555555, v[52:53]
	s_delay_alu instid0(VALU_DEP_1) | instskip(NEXT) | instid1(VALU_DEP_1)
	v_add_f64_e64 v[10:11], v[18:19], -v[10:11]
	v_xor_b32_e32 v2, 0x80000000, v11
	s_delay_alu instid0(VALU_DEP_2) | instskip(NEXT) | instid1(VALU_DEP_1)
	v_cndmask_b32_e32 v3, v10, v16, vcc_lo
	v_dual_cndmask_b32 v10, 0, v3, s0 :: v_dual_cndmask_b32 v2, v2, v17, vcc_lo
	v_and_b32_e32 v3, 1, v88
	s_delay_alu instid0(VALU_DEP_2) | instskip(NEXT) | instid1(VALU_DEP_2)
	v_bitop3_b32 v2, v2, v4, 0x80000000 bitop3:0x78
	v_cmp_eq_u32_e32 vcc_lo, 0, v3
	v_lshlrev_b32_e32 v4, 30, v88
	s_delay_alu instid0(VALU_DEP_3) | instskip(NEXT) | instid1(VALU_DEP_1)
	v_cndmask_b32_e64 v11, 0x7ff80000, v2, s0
	v_mul_f64_e32 v[10:11], s[8:9], v[10:11]
	s_delay_alu instid0(VALU_DEP_1) | instskip(SKIP_2) | instid1(VALU_DEP_2)
	v_fma_f64 v[30:31], v[14:15], v[10:11], v[22:23]
	v_mul_f64_e32 v[10:11], v[54:55], v[54:55]
	v_fmac_f64_e32 v[22:23], -2.0, v[74:75]
	v_mul_f64_e32 v[14:15], 0.5, v[10:11]
	v_fmamk_f64 v[20:21], v[10:11], 0xbda907db46cc5e42, v[96:97]
	s_delay_alu instid0(VALU_DEP_1) | instskip(NEXT) | instid1(VALU_DEP_1)
	v_fmaak_f64 v[20:21], v[10:11], v[20:21], 0xbe927e4fa17f65f6
	v_fmaak_f64 v[20:21], v[10:11], v[20:21], 0x3efa01a019f4ec90
	s_delay_alu instid0(VALU_DEP_1) | instskip(NEXT) | instid1(VALU_DEP_1)
	v_fmaak_f64 v[20:21], v[10:11], v[20:21], 0xbf56c16c16c16967
	v_fmaak_f64 v[20:21], v[10:11], v[20:21], 0x3fa5555555555555
	v_add_f64_e64 v[16:17], -v[14:15], 1.0
	s_delay_alu instid0(VALU_DEP_1) | instskip(NEXT) | instid1(VALU_DEP_1)
	v_add_f64_e64 v[18:19], -v[16:17], 1.0
	v_add_f64_e64 v[14:15], v[18:19], -v[14:15]
	v_mul_f64_e32 v[18:19], v[10:11], v[10:11]
	s_delay_alu instid0(VALU_DEP_2) | instskip(NEXT) | instid1(VALU_DEP_1)
	v_fma_f64 v[14:15], v[54:55], -v[56:57], v[14:15]
	v_fmac_f64_e32 v[14:15], v[18:19], v[20:21]
	v_mul_f64_e64 v[18:19], v[54:55], -v[10:11]
	s_delay_alu instid0(VALU_DEP_2) | instskip(SKIP_2) | instid1(VALU_DEP_1)
	v_add_f64_e32 v[14:15], v[16:17], v[14:15]
	v_mul_f64_e32 v[20:21], 0.5, v[56:57]
	v_fmamk_f64 v[16:17], v[10:11], 0x3de5e0b2f9a43bb8, v[12:13]
	v_fmaak_f64 v[16:17], v[10:11], v[16:17], 0x3ec71de3796cde01
	s_delay_alu instid0(VALU_DEP_1) | instskip(NEXT) | instid1(VALU_DEP_1)
	v_fmaak_f64 v[16:17], v[10:11], v[16:17], 0xbf2a01a019e83e5c
	v_fmaak_f64 v[16:17], v[10:11], v[16:17], 0x3f81111111110bb3
	s_delay_alu instid0(VALU_DEP_1) | instskip(NEXT) | instid1(VALU_DEP_1)
	v_fmac_f64_e32 v[20:21], v[18:19], v[16:17]
	v_fma_f64 v[10:11], v[10:11], v[20:21], -v[56:57]
	v_mov_b64_e32 v[56:57], 0.5
	s_delay_alu instid0(VALU_DEP_2) | instskip(NEXT) | instid1(VALU_DEP_1)
	v_fmac_f64_e32 v[10:11], 0xbfc5555555555555, v[18:19]
	v_add_f64_e64 v[10:11], v[54:55], -v[10:11]
	v_mov_b64_e32 v[54:55], 0x3e928af3fca7ab0c
	s_delay_alu instid0(VALU_DEP_2) | instskip(NEXT) | instid1(VALU_DEP_3)
	v_xor_b32_e32 v2, 0x80000000, v11
	v_cndmask_b32_e32 v3, v10, v14, vcc_lo
	s_delay_alu instid0(VALU_DEP_2) | instskip(NEXT) | instid1(VALU_DEP_2)
	v_cndmask_b32_e32 v2, v2, v15, vcc_lo
	v_cndmask_b32_e64 v10, 0, v3, s0
	v_and_b32_e32 v3, 1, v83
	s_delay_alu instid0(VALU_DEP_3) | instskip(SKIP_1) | instid1(VALU_DEP_2)
	v_bitop3_b32 v2, v2, v4, 0x80000000 bitop3:0x78
	v_lshlrev_b32_e32 v4, 30, v83
	v_cndmask_b32_e64 v11, 0x7ff80000, v2, s0
	s_delay_alu instid0(VALU_DEP_2) | instskip(NEXT) | instid1(VALU_DEP_2)
	v_and_b32_e32 v4, 0x80000000, v4
	v_mul_f64_e32 v[10:11], v[36:37], v[10:11]
	s_delay_alu instid0(VALU_DEP_1) | instskip(NEXT) | instid1(VALU_DEP_1)
	v_fmac_f64_e32 v[10:11], v[6:7], v[0:1]
	v_div_scale_f64 v[0:1], null, v[30:31], v[30:31], -v[10:11]
	s_delay_alu instid0(VALU_DEP_1) | instskip(SKIP_1) | instid1(TRANS32_DEP_1)
	v_rcp_f64_e32 v[6:7], v[0:1]
	v_nop
	v_fma_f64 v[14:15], -v[0:1], v[6:7], 1.0
	s_delay_alu instid0(VALU_DEP_1) | instskip(NEXT) | instid1(VALU_DEP_1)
	v_fmac_f64_e32 v[6:7], v[6:7], v[14:15]
	v_fma_f64 v[14:15], -v[0:1], v[6:7], 1.0
	s_delay_alu instid0(VALU_DEP_1) | instskip(SKIP_1) | instid1(VALU_DEP_1)
	v_fmac_f64_e32 v[6:7], v[6:7], v[14:15]
	v_div_scale_f64 v[14:15], vcc_lo, -v[10:11], v[30:31], -v[10:11]
	v_mul_f64_e32 v[16:17], v[14:15], v[6:7]
	s_delay_alu instid0(VALU_DEP_1) | instskip(NEXT) | instid1(VALU_DEP_1)
	v_fma_f64 v[0:1], -v[0:1], v[16:17], v[14:15]
	v_div_fmas_f64 v[0:1], v[0:1], v[6:7], v[16:17]
	v_mul_f64_e32 v[6:7], v[38:39], v[38:39]
	v_cmp_eq_u32_e32 vcc_lo, 0, v3
	s_delay_alu instid0(VALU_DEP_3) | instskip(NEXT) | instid1(VALU_DEP_3)
	v_div_fixup_f64 v[36:37], v[0:1], v[30:31], -v[10:11]
	v_mul_f64_e32 v[10:11], 0.5, v[6:7]
	v_fmamk_f64 v[18:19], v[6:7], 0xbda907db46cc5e42, v[96:97]
	s_delay_alu instid0(VALU_DEP_1) | instskip(NEXT) | instid1(VALU_DEP_1)
	v_fmaak_f64 v[18:19], v[6:7], v[18:19], 0xbe927e4fa17f65f6
	v_fmaak_f64 v[18:19], v[6:7], v[18:19], 0x3efa01a019f4ec90
	s_delay_alu instid0(VALU_DEP_1) | instskip(NEXT) | instid1(VALU_DEP_1)
	v_fmaak_f64 v[18:19], v[6:7], v[18:19], 0xbf56c16c16c16967
	v_fmaak_f64 v[18:19], v[6:7], v[18:19], 0x3fa5555555555555
	v_add_f64_e64 v[14:15], -v[10:11], 1.0
	s_delay_alu instid0(VALU_DEP_1) | instskip(NEXT) | instid1(VALU_DEP_1)
	v_add_f64_e64 v[16:17], -v[14:15], 1.0
	v_add_f64_e64 v[10:11], v[16:17], -v[10:11]
	v_mul_f64_e32 v[16:17], v[6:7], v[6:7]
	s_delay_alu instid0(VALU_DEP_2) | instskip(NEXT) | instid1(VALU_DEP_1)
	v_fma_f64 v[10:11], v[38:39], -v[40:41], v[10:11]
	v_fmac_f64_e32 v[10:11], v[16:17], v[18:19]
	v_mul_f64_e64 v[16:17], v[38:39], -v[6:7]
	v_mul_f64_e32 v[18:19], 0.5, v[40:41]
	s_delay_alu instid0(VALU_DEP_3) | instskip(SKIP_1) | instid1(VALU_DEP_1)
	v_add_f64_e32 v[10:11], v[14:15], v[10:11]
	v_fmamk_f64 v[14:15], v[6:7], 0x3de5e0b2f9a43bb8, v[12:13]
	v_fmaak_f64 v[14:15], v[6:7], v[14:15], 0x3ec71de3796cde01
	s_delay_alu instid0(VALU_DEP_1) | instskip(NEXT) | instid1(VALU_DEP_1)
	v_fmaak_f64 v[14:15], v[6:7], v[14:15], 0xbf2a01a019e83e5c
	v_fmaak_f64 v[14:15], v[6:7], v[14:15], 0x3f81111111110bb3
	s_delay_alu instid0(VALU_DEP_1) | instskip(NEXT) | instid1(VALU_DEP_1)
	v_fmac_f64_e32 v[18:19], v[16:17], v[14:15]
	v_fma_f64 v[6:7], v[6:7], v[18:19], -v[40:41]
	s_delay_alu instid0(VALU_DEP_1) | instskip(NEXT) | instid1(VALU_DEP_1)
	v_fmac_f64_e32 v[6:7], 0xbfc5555555555555, v[16:17]
	v_add_f64_e64 v[6:7], v[38:39], -v[6:7]
	s_delay_alu instid0(VALU_DEP_1) | instskip(NEXT) | instid1(VALU_DEP_2)
	v_xor_b32_e32 v2, 0x80000000, v7
	v_dual_mul_f64 v[0:1], v[60:61], v[60:61] :: v_dual_cndmask_b32 v3, v6, v10, vcc_lo
	s_delay_alu instid0(VALU_DEP_2) | instskip(NEXT) | instid1(VALU_DEP_2)
	v_cndmask_b32_e32 v2, v2, v11, vcc_lo
	v_dual_cndmask_b32 v6, 0, v3, s2 :: v_dual_bitop2_b32 v3, 1, v84 bitop3:0x40
	s_delay_alu instid0(VALU_DEP_2) | instskip(SKIP_1) | instid1(VALU_DEP_3)
	v_xor_b32_e32 v2, v2, v4
	v_lshlrev_b32_e32 v4, 30, v84
	v_cmp_eq_u32_e32 vcc_lo, 0, v3
	s_delay_alu instid0(VALU_DEP_3) | instskip(NEXT) | instid1(VALU_DEP_1)
	v_cndmask_b32_e64 v7, 0x7ff80000, v2, s2
	v_mul_f64_e32 v[0:1], v[0:1], v[6:7]
	v_mul_f64_e32 v[6:7], v[42:43], v[42:43]
	s_delay_alu instid0(VALU_DEP_1) | instskip(SKIP_1) | instid1(VALU_DEP_1)
	v_mul_f64_e32 v[10:11], 0.5, v[6:7]
	v_fmamk_f64 v[18:19], v[6:7], 0xbda907db46cc5e42, v[96:97]
	v_fmaak_f64 v[18:19], v[6:7], v[18:19], 0xbe927e4fa17f65f6
	s_delay_alu instid0(VALU_DEP_1) | instskip(NEXT) | instid1(VALU_DEP_1)
	v_fmaak_f64 v[18:19], v[6:7], v[18:19], 0x3efa01a019f4ec90
	v_fmaak_f64 v[18:19], v[6:7], v[18:19], 0xbf56c16c16c16967
	s_delay_alu instid0(VALU_DEP_1) | instskip(SKIP_1) | instid1(VALU_DEP_1)
	v_fmaak_f64 v[18:19], v[6:7], v[18:19], 0x3fa5555555555555
	v_add_f64_e64 v[14:15], -v[10:11], 1.0
	v_add_f64_e64 v[16:17], -v[14:15], 1.0
	s_delay_alu instid0(VALU_DEP_1) | instskip(SKIP_1) | instid1(VALU_DEP_2)
	v_add_f64_e64 v[10:11], v[16:17], -v[10:11]
	v_mul_f64_e32 v[16:17], v[6:7], v[6:7]
	v_fma_f64 v[10:11], v[42:43], -v[44:45], v[10:11]
	s_delay_alu instid0(VALU_DEP_1) | instskip(SKIP_1) | instid1(VALU_DEP_2)
	v_fmac_f64_e32 v[10:11], v[16:17], v[18:19]
	v_mul_f64_e64 v[16:17], v[42:43], -v[6:7]
	v_add_f64_e32 v[10:11], v[14:15], v[10:11]
	v_mul_f64_e32 v[18:19], 0.5, v[44:45]
	v_fmamk_f64 v[14:15], v[6:7], 0x3de5e0b2f9a43bb8, v[12:13]
	s_delay_alu instid0(VALU_DEP_1) | instskip(NEXT) | instid1(VALU_DEP_1)
	v_fmaak_f64 v[14:15], v[6:7], v[14:15], 0x3ec71de3796cde01
	v_fmaak_f64 v[14:15], v[6:7], v[14:15], 0xbf2a01a019e83e5c
	s_delay_alu instid0(VALU_DEP_1) | instskip(NEXT) | instid1(VALU_DEP_1)
	v_fmaak_f64 v[14:15], v[6:7], v[14:15], 0x3f81111111110bb3
	v_fmac_f64_e32 v[18:19], v[16:17], v[14:15]
	s_delay_alu instid0(VALU_DEP_1) | instskip(NEXT) | instid1(VALU_DEP_1)
	v_fma_f64 v[6:7], v[6:7], v[18:19], -v[44:45]
	v_fmac_f64_e32 v[6:7], 0xbfc5555555555555, v[16:17]
	s_delay_alu instid0(VALU_DEP_1) | instskip(NEXT) | instid1(VALU_DEP_1)
	v_add_f64_e64 v[6:7], v[42:43], -v[6:7]
	v_xor_b32_e32 v2, 0x80000000, v7
	s_delay_alu instid0(VALU_DEP_2) | instskip(NEXT) | instid1(VALU_DEP_2)
	v_cndmask_b32_e32 v3, v6, v10, vcc_lo
	v_cndmask_b32_e32 v2, v2, v11, vcc_lo
	v_mul_f64_e32 v[10:11], v[46:47], v[46:47]
	s_delay_alu instid0(VALU_DEP_3) | instskip(NEXT) | instid1(VALU_DEP_2)
	v_cndmask_b32_e64 v6, 0, v3, s0
	v_mul_f64_e32 v[14:15], 0.5, v[10:11]
	v_fmamk_f64 v[20:21], v[10:11], 0xbda907db46cc5e42, v[96:97]
	s_delay_alu instid0(VALU_DEP_1) | instskip(NEXT) | instid1(VALU_DEP_1)
	v_fmaak_f64 v[20:21], v[10:11], v[20:21], 0xbe927e4fa17f65f6
	v_fmaak_f64 v[20:21], v[10:11], v[20:21], 0x3efa01a019f4ec90
	s_delay_alu instid0(VALU_DEP_1) | instskip(NEXT) | instid1(VALU_DEP_1)
	v_fmaak_f64 v[20:21], v[10:11], v[20:21], 0xbf56c16c16c16967
	v_fmaak_f64 v[20:21], v[10:11], v[20:21], 0x3fa5555555555555
	v_add_f64_e64 v[16:17], -v[14:15], 1.0
	s_delay_alu instid0(VALU_DEP_1) | instskip(NEXT) | instid1(VALU_DEP_1)
	v_add_f64_e64 v[18:19], -v[16:17], 1.0
	v_add_f64_e64 v[14:15], v[18:19], -v[14:15]
	v_mul_f64_e32 v[18:19], v[10:11], v[10:11]
	s_delay_alu instid0(VALU_DEP_2) | instskip(NEXT) | instid1(VALU_DEP_1)
	v_fma_f64 v[14:15], v[46:47], -v[48:49], v[14:15]
	v_fmac_f64_e32 v[14:15], v[18:19], v[20:21]
	v_mul_f64_e64 v[18:19], v[46:47], -v[10:11]
	v_mul_f64_e32 v[20:21], 0.5, v[48:49]
	v_bitop3_b32 v2, v2, v4, 0x80000000 bitop3:0x78
	v_lshlrev_b32_e32 v4, 30, v85
	s_delay_alu instid0(VALU_DEP_2) | instskip(SKIP_1) | instid1(VALU_DEP_3)
	v_cndmask_b32_e64 v7, 0x7ff80000, v2, s0
	v_and_b32_e32 v2, 1, v85
	v_xor_b32_e32 v4, v4, v93
	s_delay_alu instid0(VALU_DEP_3) | instskip(NEXT) | instid1(VALU_DEP_3)
	v_mul_f64_e32 v[0:1], v[0:1], v[6:7]
	v_cmp_eq_u32_e32 vcc_lo, 0, v2
	v_add_f64_e32 v[14:15], v[16:17], v[14:15]
	v_fmamk_f64 v[16:17], v[10:11], 0x3de5e0b2f9a43bb8, v[12:13]
	s_delay_alu instid0(VALU_DEP_1) | instskip(NEXT) | instid1(VALU_DEP_1)
	v_fmaak_f64 v[16:17], v[10:11], v[16:17], 0x3ec71de3796cde01
	v_fmaak_f64 v[16:17], v[10:11], v[16:17], 0xbf2a01a019e83e5c
	s_delay_alu instid0(VALU_DEP_1) | instskip(NEXT) | instid1(VALU_DEP_1)
	v_fmaak_f64 v[16:17], v[10:11], v[16:17], 0x3f81111111110bb3
	v_fmac_f64_e32 v[20:21], v[18:19], v[16:17]
	s_delay_alu instid0(VALU_DEP_1) | instskip(NEXT) | instid1(VALU_DEP_1)
	v_fma_f64 v[10:11], v[10:11], v[20:21], -v[48:49]
	v_fmac_f64_e32 v[10:11], 0xbfc5555555555555, v[18:19]
	s_delay_alu instid0(VALU_DEP_1) | instskip(NEXT) | instid1(VALU_DEP_1)
	v_add_f64_e64 v[10:11], v[46:47], -v[10:11]
	v_dual_cndmask_b32 v2, v14, v10 :: v_dual_cndmask_b32 v3, v15, v11
	s_delay_alu instid0(VALU_DEP_1) | instskip(NEXT) | instid1(VALU_DEP_2)
	v_dual_mul_f64 v[6:7], v[74:75], v[60:61] :: v_dual_cndmask_b32 v10, 0, v2, s0
	v_bitop3_b32 v3, v3, v4, 0x80000000 bitop3:0x78
	v_mov_b64_e32 v[4:5], 0x3fba6564968915a9
	s_delay_alu instid0(VALU_DEP_2) | instskip(NEXT) | instid1(VALU_DEP_4)
	v_cndmask_b32_e64 v11, 0x7ff80000, v3, s0
	v_mul_f64_e32 v[6:7], v[6:7], v[50:51]
	v_mov_b64_e32 v[50:51], 0
	s_delay_alu instid0(VALU_DEP_2) | instskip(NEXT) | instid1(VALU_DEP_1)
	v_fma_f64 v[0:1], v[6:7], v[10:11], -v[0:1]
	v_div_scale_f64 v[6:7], null, v[30:31], v[30:31], -v[0:1]
	s_delay_alu instid0(VALU_DEP_1) | instskip(SKIP_1) | instid1(TRANS32_DEP_1)
	v_rcp_f64_e32 v[10:11], v[6:7]
	v_nop
	v_fma_f64 v[14:15], -v[6:7], v[10:11], 1.0
	s_delay_alu instid0(VALU_DEP_1) | instskip(NEXT) | instid1(VALU_DEP_1)
	v_fmac_f64_e32 v[10:11], v[10:11], v[14:15]
	v_fma_f64 v[14:15], -v[6:7], v[10:11], 1.0
	s_delay_alu instid0(VALU_DEP_1) | instskip(SKIP_1) | instid1(VALU_DEP_1)
	v_fmac_f64_e32 v[10:11], v[10:11], v[14:15]
	v_div_scale_f64 v[14:15], vcc_lo, -v[0:1], v[30:31], -v[0:1]
	v_mul_f64_e32 v[16:17], v[14:15], v[10:11]
	s_delay_alu instid0(VALU_DEP_1) | instskip(NEXT) | instid1(VALU_DEP_1)
	v_fma_f64 v[6:7], -v[6:7], v[16:17], v[14:15]
	v_div_fmas_f64 v[6:7], v[6:7], v[10:11], v[16:17]
	s_delay_alu instid0(VALU_DEP_1) | instskip(SKIP_1) | instid1(VALU_DEP_1)
	v_div_fixup_f64 v[38:39], v[6:7], v[30:31], -v[0:1]
	v_add_f64_e64 v[0:1], -v[8:9], 1.0
	v_cmp_gt_f64_e32 vcc_lo, 0x10000000, v[0:1]
	s_and_b32 s1, vcc_lo, exec_lo
	s_cselect_b32 s1, 0x100, 0
	s_delay_alu instid0(SALU_CYCLE_1) | instskip(SKIP_1) | instid1(VALU_DEP_1)
	v_ldexp_f64 v[6:7], v[0:1], s1
	s_cselect_b32 s1, 0xffffff80, 0
	v_rsq_f64_e32 v[10:11], v[6:7]
	v_cmp_class_f64_e64 vcc_lo, v[6:7], 0x260
	s_delay_alu instid0(TRANS32_DEP_1) | instskip(SKIP_1) | instid1(VALU_DEP_1)
	v_mul_f64_e32 v[14:15], v[6:7], v[10:11]
	v_mul_f64_e32 v[10:11], 0.5, v[10:11]
	v_fma_f64 v[16:17], -v[10:11], v[14:15], 0.5
	s_delay_alu instid0(VALU_DEP_1) | instskip(SKIP_1) | instid1(VALU_DEP_2)
	v_fmac_f64_e32 v[14:15], v[14:15], v[16:17]
	v_fmac_f64_e32 v[10:11], v[10:11], v[16:17]
	v_fma_f64 v[18:19], -v[14:15], v[14:15], v[6:7]
	s_delay_alu instid0(VALU_DEP_1) | instskip(NEXT) | instid1(VALU_DEP_1)
	v_fmac_f64_e32 v[14:15], v[18:19], v[10:11]
	v_fma_f64 v[16:17], -v[14:15], v[14:15], v[6:7]
	s_delay_alu instid0(VALU_DEP_1) | instskip(NEXT) | instid1(VALU_DEP_1)
	v_fmac_f64_e32 v[14:15], v[16:17], v[10:11]
	v_ldexp_f64 v[10:11], v[14:15], s1
	s_delay_alu instid0(VALU_DEP_1) | instskip(SKIP_1) | instid1(VALU_DEP_2)
	v_dual_cndmask_b32 v7, v11, v7 :: v_dual_cndmask_b32 v6, v10, v6
	v_cmp_eq_f64_e32 vcc_lo, 1.0, v[0:1]
	v_add_f64_e32 v[6:7], 1.0, v[6:7]
	s_and_b32 s1, vcc_lo, exec_lo
	s_cselect_b32 s3, s4, 0x3fd55555
	s_cselect_b32 s2, 0, 0x55555555
	s_delay_alu instid0(VALU_DEP_1)
	v_add_f64_e32 v[2:3], 0x3ee4f8b588e368f1, v[6:7]
	v_frexp_mant_f64_e64 v[6:7], |v[0:1]|
	scratch_store_b64 off, v[2:3], off offset:168 ; 8-byte Folded Spill
	v_cmp_gt_f64_e32 vcc_lo, s[14:15], v[6:7]
	s_wait_xcnt 0x0
	v_frexp_exp_i32_f64_e32 v2, v[0:1]
	v_cndmask_b32_e64 v3, 0, 1, vcc_lo
	s_delay_alu instid0(VALU_DEP_2) | instskip(NEXT) | instid1(VALU_DEP_2)
	v_subrev_co_ci_u32_e64 v2, null, 0, v2, vcc_lo
	v_ldexp_f64 v[6:7], v[6:7], v3
	s_delay_alu instid0(VALU_DEP_1) | instskip(SKIP_1) | instid1(VALU_DEP_2)
	v_add_f64_e32 v[14:15], 1.0, v[6:7]
	v_add_f64_e32 v[10:11], -1.0, v[6:7]
	v_add_f64_e32 v[16:17], -1.0, v[14:15]
	s_delay_alu instid0(VALU_DEP_1) | instskip(SKIP_2) | instid1(TRANS32_DEP_1)
	v_add_f64_e64 v[6:7], v[6:7], -v[16:17]
	v_rcp_f64_e32 v[16:17], v[14:15]
	v_nop
	v_fma_f64 v[18:19], -v[14:15], v[16:17], 1.0
	s_delay_alu instid0(VALU_DEP_1) | instskip(NEXT) | instid1(VALU_DEP_1)
	v_fmac_f64_e32 v[16:17], v[18:19], v[16:17]
	v_fma_f64 v[18:19], -v[14:15], v[16:17], 1.0
	s_delay_alu instid0(VALU_DEP_1) | instskip(NEXT) | instid1(VALU_DEP_1)
	v_fmac_f64_e32 v[16:17], v[18:19], v[16:17]
	v_mul_f64_e32 v[18:19], v[10:11], v[16:17]
	s_delay_alu instid0(VALU_DEP_1) | instskip(NEXT) | instid1(VALU_DEP_1)
	v_mul_f64_e32 v[20:21], v[14:15], v[18:19]
	v_fma_f64 v[14:15], v[18:19], v[14:15], -v[20:21]
	s_delay_alu instid0(VALU_DEP_1) | instskip(NEXT) | instid1(VALU_DEP_1)
	v_fmac_f64_e32 v[14:15], v[18:19], v[6:7]
	v_add_f64_e32 v[6:7], v[20:21], v[14:15]
	s_delay_alu instid0(VALU_DEP_1) | instskip(SKIP_1) | instid1(VALU_DEP_2)
	v_add_f64_e64 v[40:41], v[10:11], -v[6:7]
	v_add_f64_e64 v[20:21], v[6:7], -v[20:21]
	;; [unrolled: 1-line block ×3, first 2 shown]
	s_delay_alu instid0(VALU_DEP_1) | instskip(NEXT) | instid1(VALU_DEP_3)
	v_add_f64_e64 v[6:7], v[10:11], -v[6:7]
	v_add_f64_e64 v[10:11], v[20:21], -v[14:15]
                                        ; implicit-def: $vgpr20_vgpr21
                                        ; implicit-def: $vgpr20_vgpr21
	;; [unrolled: 1-line block ×7, first 2 shown]
	v_cvt_f64_i32_e32 v[20:21], v2
	s_delay_alu instid0(VALU_DEP_2) | instskip(NEXT) | instid1(VALU_DEP_1)
	v_add_f64_e32 v[6:7], v[10:11], v[6:7]
	v_add_f64_e32 v[6:7], v[40:41], v[6:7]
	s_delay_alu instid0(VALU_DEP_3) | instskip(NEXT) | instid1(VALU_DEP_2)
	v_mul_f64_e32 v[40:41], 0x3fe62e42fefa39ef, v[20:21]
	v_mul_f64_e32 v[6:7], v[16:17], v[6:7]
	s_delay_alu instid0(VALU_DEP_2) | instskip(NEXT) | instid1(VALU_DEP_2)
	v_fma_f64 v[42:43], v[20:21], s[16:17], -v[40:41]
	v_add_f64_e32 v[10:11], v[18:19], v[6:7]
	s_delay_alu instid0(VALU_DEP_2) | instskip(NEXT) | instid1(VALU_DEP_2)
	v_fmac_f64_e32 v[42:43], 0x3c7abc9e3b39803f, v[20:21]
	v_add_f64_e64 v[14:15], v[10:11], -v[18:19]
	s_delay_alu instid0(VALU_DEP_2) | instskip(NEXT) | instid1(VALU_DEP_2)
	v_add_f64_e32 v[20:21], v[40:41], v[42:43]
	v_add_f64_e64 v[6:7], v[6:7], -v[14:15]
	v_mul_f64_e32 v[14:15], v[10:11], v[10:11]
	s_delay_alu instid0(VALU_DEP_3) | instskip(NEXT) | instid1(VALU_DEP_3)
	v_add_f64_e64 v[40:41], v[20:21], -v[40:41]
	v_add_f64_e32 v[18:19], v[6:7], v[6:7]
	s_delay_alu instid0(VALU_DEP_3) | instskip(SKIP_1) | instid1(VALU_DEP_4)
	v_fma_f64 v[16:17], v[10:11], v[10:11], -v[14:15]
	v_ldexp_f64 v[44:45], v[6:7], 1
	v_add_f64_e64 v[40:41], v[42:43], -v[40:41]
	v_ldexp_f64 v[42:43], v[10:11], 1
	s_delay_alu instid0(VALU_DEP_4) | instskip(NEXT) | instid1(VALU_DEP_1)
	v_fmac_f64_e32 v[16:17], v[10:11], v[18:19]
	v_add_f64_e32 v[18:19], v[14:15], v[16:17]
	s_delay_alu instid0(VALU_DEP_1) | instskip(SKIP_1) | instid1(VALU_DEP_2)
	v_mul_f64_e32 v[46:47], v[10:11], v[18:19]
	v_add_f64_e64 v[14:15], v[18:19], -v[14:15]
	v_fma_f64 v[48:49], v[18:19], v[10:11], -v[46:47]
	s_delay_alu instid0(VALU_DEP_2) | instskip(SKIP_1) | instid1(VALU_DEP_1)
	v_add_f64_e64 v[14:15], v[16:17], -v[14:15]
	v_fmamk_f64 v[16:17], v[18:19], 0x3fbdee674222de17, v[4:5]
	v_fmaak_f64 v[16:17], v[18:19], v[16:17], 0x3fbe25e43abe935a
	s_delay_alu instid0(VALU_DEP_1) | instskip(NEXT) | instid1(VALU_DEP_1)
	v_fmaak_f64 v[16:17], v[18:19], v[16:17], 0x3fc110ef47e6c9c2
	v_fmaak_f64 v[16:17], v[18:19], v[16:17], 0x3fc3b13bcfa74449
	s_delay_alu instid0(VALU_DEP_1) | instskip(SKIP_1) | instid1(VALU_DEP_2)
	v_fmaak_f64 v[16:17], v[18:19], v[16:17], 0x3fc745d171bf3c30
	v_fmac_f64_e32 v[48:49], v[18:19], v[6:7]
	v_fmaak_f64 v[16:17], v[18:19], v[16:17], 0x3fcc71c71c7792ce
	s_delay_alu instid0(VALU_DEP_1) | instskip(NEXT) | instid1(VALU_DEP_1)
	v_fmaak_f64 v[16:17], v[18:19], v[16:17], 0x3fd24924924920da
	v_fmaak_f64 v[16:17], v[18:19], v[16:17], 0x3fd999999999999c
	s_delay_alu instid0(VALU_DEP_4) | instskip(NEXT) | instid1(VALU_DEP_1)
	v_fmac_f64_e32 v[48:49], v[14:15], v[10:11]
	v_add_f64_e32 v[6:7], v[46:47], v[48:49]
	s_delay_alu instid0(VALU_DEP_1) | instskip(NEXT) | instid1(VALU_DEP_4)
	v_add_f64_e64 v[10:11], v[6:7], -v[46:47]
	v_mul_f64_e32 v[46:47], v[18:19], v[16:17]
	s_delay_alu instid0(VALU_DEP_2) | instskip(NEXT) | instid1(VALU_DEP_2)
	v_add_f64_e64 v[10:11], v[48:49], -v[10:11]
	v_fma_f64 v[18:19], v[18:19], v[16:17], -v[46:47]
	s_delay_alu instid0(VALU_DEP_1) | instskip(NEXT) | instid1(VALU_DEP_1)
	v_fmac_f64_e32 v[18:19], v[14:15], v[16:17]
	v_add_f64_e32 v[14:15], v[46:47], v[18:19]
	s_delay_alu instid0(VALU_DEP_1) | instskip(NEXT) | instid1(VALU_DEP_1)
	v_add_f64_e64 v[16:17], v[14:15], -v[46:47]
	v_add_f64_e64 v[16:17], v[18:19], -v[16:17]
	v_add_f64_e32 v[18:19], 0x3fe5555555555555, v[14:15]
	s_delay_alu instid0(VALU_DEP_2) | instskip(NEXT) | instid1(VALU_DEP_2)
	v_add_f64_e32 v[16:17], 0x3c8543b0d5df274d, v[16:17]
	v_add_f64_e32 v[46:47], 0xbfe5555555555555, v[18:19]
	s_delay_alu instid0(VALU_DEP_1) | instskip(NEXT) | instid1(VALU_DEP_1)
	v_add_f64_e64 v[14:15], v[14:15], -v[46:47]
	v_add_f64_e32 v[14:15], v[16:17], v[14:15]
	s_delay_alu instid0(VALU_DEP_1) | instskip(NEXT) | instid1(VALU_DEP_1)
	v_add_f64_e32 v[16:17], v[18:19], v[14:15]
	v_add_f64_e64 v[18:19], v[18:19], -v[16:17]
	s_delay_alu instid0(VALU_DEP_1) | instskip(SKIP_1) | instid1(VALU_DEP_1)
	v_add_f64_e32 v[14:15], v[14:15], v[18:19]
	v_mul_f64_e32 v[18:19], v[6:7], v[16:17]
	v_fma_f64 v[46:47], v[6:7], v[16:17], -v[18:19]
	s_delay_alu instid0(VALU_DEP_1) | instskip(NEXT) | instid1(VALU_DEP_1)
	v_fmac_f64_e32 v[46:47], v[6:7], v[14:15]
	v_fmac_f64_e32 v[46:47], v[10:11], v[16:17]
	s_delay_alu instid0(VALU_DEP_1) | instskip(NEXT) | instid1(VALU_DEP_1)
	v_add_f64_e32 v[6:7], v[18:19], v[46:47]
	v_add_f64_e64 v[10:11], v[6:7], -v[18:19]
	v_add_f64_e32 v[14:15], v[42:43], v[6:7]
	s_delay_alu instid0(VALU_DEP_2) | instskip(NEXT) | instid1(VALU_DEP_2)
	v_add_f64_e64 v[10:11], v[46:47], -v[10:11]
	v_add_f64_e64 v[16:17], v[14:15], -v[42:43]
	s_delay_alu instid0(VALU_DEP_2) | instskip(NEXT) | instid1(VALU_DEP_2)
	v_add_f64_e32 v[10:11], v[44:45], v[10:11]
	v_add_f64_e64 v[6:7], v[6:7], -v[16:17]
	s_delay_alu instid0(VALU_DEP_1) | instskip(NEXT) | instid1(VALU_DEP_1)
	v_add_f64_e32 v[6:7], v[10:11], v[6:7]
	v_add_f64_e32 v[10:11], v[14:15], v[6:7]
	s_delay_alu instid0(VALU_DEP_1) | instskip(NEXT) | instid1(VALU_DEP_1)
	v_add_f64_e64 v[14:15], v[10:11], -v[14:15]
	v_add_f64_e64 v[6:7], v[6:7], -v[14:15]
	v_add_f64_e32 v[14:15], v[20:21], v[10:11]
	s_delay_alu instid0(VALU_DEP_1) | instskip(NEXT) | instid1(VALU_DEP_1)
	v_add_f64_e64 v[16:17], v[14:15], -v[20:21]
	v_add_f64_e64 v[18:19], v[14:15], -v[16:17]
	;; [unrolled: 1-line block ×3, first 2 shown]
	v_add_f64_e32 v[16:17], v[40:41], v[6:7]
	s_delay_alu instid0(VALU_DEP_3) | instskip(NEXT) | instid1(VALU_DEP_1)
	v_add_f64_e64 v[18:19], v[20:21], -v[18:19]
	v_add_f64_e32 v[10:11], v[10:11], v[18:19]
	s_delay_alu instid0(VALU_DEP_3) | instskip(NEXT) | instid1(VALU_DEP_2)
	v_add_f64_e64 v[18:19], v[16:17], -v[40:41]
	v_add_f64_e32 v[10:11], v[16:17], v[10:11]
	s_delay_alu instid0(VALU_DEP_2) | instskip(SKIP_1) | instid1(VALU_DEP_3)
	v_add_f64_e64 v[20:21], v[16:17], -v[18:19]
	v_add_f64_e64 v[6:7], v[6:7], -v[18:19]
	v_add_f64_e32 v[16:17], v[14:15], v[10:11]
	s_delay_alu instid0(VALU_DEP_3) | instskip(NEXT) | instid1(VALU_DEP_2)
	v_add_f64_e64 v[20:21], v[40:41], -v[20:21]
	v_add_f64_e64 v[14:15], v[16:17], -v[14:15]
	s_delay_alu instid0(VALU_DEP_2) | instskip(NEXT) | instid1(VALU_DEP_2)
	v_add_f64_e32 v[6:7], v[6:7], v[20:21]
                                        ; implicit-def: $vgpr20_vgpr21
                                        ; implicit-def: $vgpr20_vgpr21
	;; [unrolled: 1-line block ×8, first 2 shown]
	v_add_f64_e64 v[10:11], v[10:11], -v[14:15]
	s_delay_alu instid0(VALU_DEP_1) | instskip(NEXT) | instid1(VALU_DEP_1)
	v_add_f64_e32 v[6:7], v[6:7], v[10:11]
	v_add_f64_e32 v[10:11], v[16:17], v[6:7]
	s_delay_alu instid0(VALU_DEP_1) | instskip(NEXT) | instid1(VALU_DEP_1)
	v_add_f64_e64 v[14:15], v[10:11], -v[16:17]
	v_add_f64_e64 v[6:7], v[6:7], -v[14:15]
	v_mul_f64_e32 v[14:15], s[2:3], v[10:11]
	s_delay_alu instid0(VALU_DEP_1) | instskip(SKIP_1) | instid1(VALU_DEP_2)
	v_fma_f64 v[10:11], s[2:3], v[10:11], -v[14:15]
	v_cmp_class_f64_e64 vcc_lo, v[14:15], 0x204
	v_fmac_f64_e32 v[10:11], s[2:3], v[6:7]
	s_delay_alu instid0(VALU_DEP_1) | instskip(NEXT) | instid1(VALU_DEP_1)
	v_add_f64_e32 v[6:7], v[14:15], v[10:11]
	v_add_f64_e64 v[16:17], v[6:7], -v[14:15]
	v_dual_cndmask_b32 v7, v7, v15 :: v_dual_cndmask_b32 v6, v6, v14
	s_delay_alu instid0(VALU_DEP_1) | instskip(SKIP_3) | instid1(VALU_DEP_4)
	v_mul_f64_e32 v[14:15], 0x3ff71547652b82fe, v[6:7]
	v_cmp_neq_f64_e64 vcc_lo, 0x7ff00000, |v[6:7]|
	v_cmp_ngt_f64_e64 s1, 0xc090cc00, v[6:7]
	v_add_f64_e64 v[10:11], v[10:11], -v[16:17]
	v_rndne_f64_e32 v[14:15], v[14:15]
	s_delay_alu instid0(VALU_DEP_2) | instskip(SKIP_1) | instid1(VALU_DEP_3)
	v_dual_cndmask_b32 v11, 0, v11 :: v_dual_cndmask_b32 v10, 0, v10
	v_cmp_nlt_f64_e32 vcc_lo, 0x40900000, v[6:7]
	v_fmamk_f64 v[16:17], v[14:15], 0xbfe62e42fefa39ef, v[6:7]
	v_cvt_i32_f64_e32 v2, v[14:15]
	s_delay_alu instid0(VALU_DEP_2) | instskip(SKIP_1) | instid1(SALU_CYCLE_1)
	v_fmac_f64_e32 v[16:17], 0xbc7abc9e3b39803f, v[14:15]
	s_and_b32 s21, s1, vcc_lo
	s_and_b32 s21, s21, exec_lo
	s_delay_alu instid0(VALU_DEP_1) | instskip(NEXT) | instid1(VALU_DEP_1)
	v_fmamk_f64 v[18:19], v[16:17], 0x3e5ade156a5dcb37, v[54:55]
	v_fmaak_f64 v[18:19], v[16:17], v[18:19], 0x3ec71dee623fde64
	s_delay_alu instid0(VALU_DEP_1) | instskip(NEXT) | instid1(VALU_DEP_1)
	v_fmaak_f64 v[18:19], v[16:17], v[18:19], 0x3efa01997c89e6b0
	v_fmaak_f64 v[18:19], v[16:17], v[18:19], 0x3f2a01a014761f6e
	s_delay_alu instid0(VALU_DEP_1) | instskip(NEXT) | instid1(VALU_DEP_1)
	v_fmaak_f64 v[18:19], v[16:17], v[18:19], 0x3f56c16c1852b7b0
	;; [unrolled: 3-line block ×4, first 2 shown]
	v_fma_f64 v[18:19], v[16:17], v[18:19], 1.0
	s_delay_alu instid0(VALU_DEP_1) | instskip(NEXT) | instid1(VALU_DEP_1)
	v_fma_f64 v[16:17], v[16:17], v[18:19], 1.0
	v_ldexp_f64 v[14:15], v[16:17], v2
	s_delay_alu instid0(VALU_DEP_1) | instskip(NEXT) | instid1(VALU_DEP_2)
	v_readfirstlane_b32 s20, v14
	v_cndmask_b32_e32 v2, 0x7ff00000, v15, vcc_lo
	s_cselect_b32 s20, s20, 0
	s_delay_alu instid0(VALU_DEP_1) | instid1(SALU_CYCLE_1)
	v_dual_cndmask_b32 v7, 0, v2, s1 :: v_dual_mov_b32 v6, s20
	s_delay_alu instid0(VALU_DEP_1) | instskip(SKIP_1) | instid1(VALU_DEP_2)
	v_fma_f64 v[10:11], v[6:7], v[10:11], v[6:7]
	v_cmp_class_f64_e64 vcc_lo, v[6:7], 0x204
	v_readfirstlane_b32 s1, v10
	s_delay_alu instid0(VALU_DEP_3) | instskip(SKIP_3) | instid1(VALU_DEP_1)
	v_cndmask_b32_e32 v6, v11, v7, vcc_lo
	v_trunc_f64_e32 v[10:11], s[2:3]
	s_and_b32 s21, vcc_lo, exec_lo
	s_cselect_b32 s20, s20, s1
	v_cmp_eq_f64_e32 vcc_lo, s[2:3], v[10:11]
	v_mul_f64_e64 v[10:11], s[2:3], 0.5
	v_cmp_gt_f64_e64 s2, 0, v[0:1]
	s_delay_alu instid0(VALU_DEP_2) | instskip(NEXT) | instid1(VALU_DEP_1)
	v_trunc_f64_e32 v[14:15], v[10:11]
	v_cmp_neq_f64_e64 s1, v[14:15], v[10:11]
	s_and_b32 s1, vcc_lo, s1
	s_and_b32 s3, vcc_lo, exec_lo
	v_cndmask_b32_e64 v2, 0x3ff00000, v1, s1
	s_cselect_b32 s3, s20, 0
	s_and_b32 s21, s2, exec_lo
	s_cselect_b32 s3, s3, s20
	s_delay_alu instid0(VALU_DEP_1) | instskip(SKIP_1) | instid1(VALU_DEP_2)
	v_bfi_b32 v2, 0x7fffffff, v6, v2
	v_add_f64_e64 v[6:7], s[8:9], 1.0
	v_cndmask_b32_e32 v3, 0x7ff80000, v2, vcc_lo
	v_cmp_eq_f64_e32 vcc_lo, 0, v[0:1]
	s_delay_alu instid0(VALU_DEP_2)
	v_cndmask_b32_e64 v2, v2, v3, s2
	v_cmp_class_f64_e64 s2, v[0:1], 0x204
	v_cndmask_b32_e64 v3, 0, v1, s1
	v_frexp_mant_f64_e64 v[10:11], |v[6:7]|
	s_or_b32 s2, vcc_lo, s2
	s_and_b32 s20, vcc_lo, exec_lo
	v_cmp_o_f64_e32 vcc_lo, v[0:1], v[0:1]
	s_cselect_b32 s20, 0, 0x7ff00000
	s_and_b32 s1, s2, exec_lo
	v_bfi_b32 v3, 0x7fffffff, s20, v3
	s_cselect_b32 s1, 0, s3
	s_delay_alu instid0(VALU_DEP_1) | instskip(SKIP_1) | instid1(VALU_DEP_1)
	v_cndmask_b32_e64 v2, v2, v3, s2
	s_and_b32 s2, vcc_lo, exec_lo
	v_cndmask_b32_e32 v1, 0x7ff80000, v2, vcc_lo
	v_cmp_eq_f64_e32 vcc_lo, 1.0, v[6:7]
	s_cselect_b32 s1, s1, 0
	v_frexp_exp_i32_f64_e32 v2, v[6:7]
	v_mov_b32_e32 v0, s1
	s_and_b32 s1, vcc_lo, exec_lo
	v_cmp_gt_f64_e32 vcc_lo, s[14:15], v[10:11]
	s_cselect_b32 s3, s4, 0x3fd55555
	s_cselect_b32 s2, 0, 0x55555555
	v_cndmask_b32_e64 v3, 0, 1, vcc_lo
	s_delay_alu instid0(VALU_DEP_4) | instskip(NEXT) | instid1(VALU_DEP_2)
	v_subrev_co_ci_u32_e64 v2, null, 0, v2, vcc_lo
	v_ldexp_f64 v[10:11], v[10:11], v3
	s_delay_alu instid0(VALU_DEP_1) | instskip(SKIP_1) | instid1(VALU_DEP_2)
	v_add_f64_e32 v[16:17], 1.0, v[10:11]
	v_add_f64_e32 v[14:15], -1.0, v[10:11]
	v_add_f64_e32 v[18:19], -1.0, v[16:17]
	s_delay_alu instid0(VALU_DEP_1) | instskip(SKIP_2) | instid1(TRANS32_DEP_1)
	v_add_f64_e64 v[10:11], v[10:11], -v[18:19]
	v_rcp_f64_e32 v[18:19], v[16:17]
	v_nop
	v_fma_f64 v[20:21], -v[16:17], v[18:19], 1.0
	s_delay_alu instid0(VALU_DEP_1) | instskip(NEXT) | instid1(VALU_DEP_1)
	v_fmac_f64_e32 v[18:19], v[20:21], v[18:19]
	v_fma_f64 v[20:21], -v[16:17], v[18:19], 1.0
	s_delay_alu instid0(VALU_DEP_1) | instskip(NEXT) | instid1(VALU_DEP_1)
	v_fmac_f64_e32 v[18:19], v[20:21], v[18:19]
	v_mul_f64_e32 v[20:21], v[14:15], v[18:19]
	s_delay_alu instid0(VALU_DEP_1) | instskip(NEXT) | instid1(VALU_DEP_1)
	v_mul_f64_e32 v[40:41], v[16:17], v[20:21]
	v_fma_f64 v[16:17], v[20:21], v[16:17], -v[40:41]
	s_delay_alu instid0(VALU_DEP_1) | instskip(NEXT) | instid1(VALU_DEP_1)
	v_fmac_f64_e32 v[16:17], v[20:21], v[10:11]
	v_add_f64_e32 v[10:11], v[40:41], v[16:17]
	s_delay_alu instid0(VALU_DEP_1) | instskip(SKIP_1) | instid1(VALU_DEP_2)
	v_add_f64_e64 v[42:43], v[14:15], -v[10:11]
	v_add_f64_e64 v[40:41], v[10:11], -v[40:41]
	;; [unrolled: 1-line block ×3, first 2 shown]
	s_delay_alu instid0(VALU_DEP_1) | instskip(NEXT) | instid1(VALU_DEP_3)
	v_add_f64_e64 v[10:11], v[14:15], -v[10:11]
	v_add_f64_e64 v[14:15], v[40:41], -v[16:17]
	s_delay_alu instid0(VALU_DEP_1) | instskip(NEXT) | instid1(VALU_DEP_1)
	v_add_f64_e32 v[10:11], v[14:15], v[10:11]
	v_add_f64_e32 v[10:11], v[42:43], v[10:11]
	s_delay_alu instid0(VALU_DEP_1) | instskip(NEXT) | instid1(VALU_DEP_1)
	v_mul_f64_e32 v[10:11], v[18:19], v[10:11]
	v_add_f64_e32 v[40:41], v[20:21], v[10:11]
	s_delay_alu instid0(VALU_DEP_1) | instskip(NEXT) | instid1(VALU_DEP_1)
	v_add_f64_e64 v[14:15], v[40:41], -v[20:21]
	v_add_f64_e64 v[10:11], v[10:11], -v[14:15]
	v_mul_f64_e32 v[14:15], v[40:41], v[40:41]
	s_delay_alu instid0(VALU_DEP_2) | instskip(NEXT) | instid1(VALU_DEP_2)
	v_add_f64_e32 v[18:19], v[10:11], v[10:11]
	v_fma_f64 v[16:17], v[40:41], v[40:41], -v[14:15]
	s_delay_alu instid0(VALU_DEP_1) | instskip(NEXT) | instid1(VALU_DEP_1)
	v_fmac_f64_e32 v[16:17], v[40:41], v[18:19]
	v_add_f64_e32 v[42:43], v[14:15], v[16:17]
	s_delay_alu instid0(VALU_DEP_1) | instskip(SKIP_1) | instid1(VALU_DEP_2)
	v_add_f64_e64 v[14:15], v[42:43], -v[14:15]
	v_mul_f64_e32 v[48:49], v[40:41], v[42:43]
	v_add_f64_e64 v[44:45], v[16:17], -v[14:15]
	v_fmamk_f64 v[14:15], v[42:43], 0x3fbdee674222de17, v[4:5]
	s_delay_alu instid0(VALU_DEP_3) | instskip(NEXT) | instid1(VALU_DEP_2)
	v_fma_f64 v[52:53], v[42:43], v[40:41], -v[48:49]
	v_fmaak_f64 v[14:15], v[42:43], v[14:15], 0x3fbe25e43abe935a
	s_delay_alu instid0(VALU_DEP_1) | instskip(NEXT) | instid1(VALU_DEP_1)
	v_fmaak_f64 v[14:15], v[42:43], v[14:15], 0x3fc110ef47e6c9c2
	v_fmaak_f64 v[14:15], v[42:43], v[14:15], 0x3fc3b13bcfa74449
	s_delay_alu instid0(VALU_DEP_1) | instskip(SKIP_1) | instid1(VALU_DEP_2)
	v_fmaak_f64 v[14:15], v[42:43], v[14:15], 0x3fc745d171bf3c30
	v_fmac_f64_e32 v[52:53], v[42:43], v[10:11]
	v_fmaak_f64 v[14:15], v[42:43], v[14:15], 0x3fcc71c71c7792ce
	s_delay_alu instid0(VALU_DEP_1) | instskip(NEXT) | instid1(VALU_DEP_1)
	v_fmaak_f64 v[14:15], v[42:43], v[14:15], 0x3fd24924924920da
	v_fmaak_f64 v[46:47], v[42:43], v[14:15], 0x3fd999999999999c
	v_cvt_f64_i32_e32 v[14:15], v2
	v_fmac_f64_e32 v[52:53], v[44:45], v[40:41]
	s_delay_alu instid0(VALU_DEP_2) | instskip(NEXT) | instid1(VALU_DEP_1)
	v_mul_f64_e32 v[18:19], 0x3fe62e42fefa39ef, v[14:15]
	v_fma_f64 v[20:21], v[14:15], s[16:17], -v[18:19]
	s_delay_alu instid0(VALU_DEP_1) | instskip(NEXT) | instid1(VALU_DEP_1)
	v_fmac_f64_e32 v[20:21], 0x3c7abc9e3b39803f, v[14:15]
	v_add_f64_e32 v[16:17], v[18:19], v[20:21]
	s_delay_alu instid0(VALU_DEP_1) | instskip(SKIP_2) | instid1(VALU_DEP_3)
	v_add_f64_e64 v[14:15], v[16:17], -v[18:19]
	v_ldexp_f64 v[18:19], v[10:11], 1
	v_add_f64_e32 v[10:11], v[48:49], v[52:53]
	v_add_f64_e64 v[14:15], v[20:21], -v[14:15]
	v_ldexp_f64 v[20:21], v[40:41], 1
	s_delay_alu instid0(VALU_DEP_3) | instskip(SKIP_1) | instid1(VALU_DEP_2)
	v_add_f64_e64 v[40:41], v[10:11], -v[48:49]
	v_mul_f64_e32 v[48:49], v[42:43], v[46:47]
	v_add_f64_e64 v[40:41], v[52:53], -v[40:41]
	s_delay_alu instid0(VALU_DEP_2) | instskip(NEXT) | instid1(VALU_DEP_1)
	v_fma_f64 v[42:43], v[42:43], v[46:47], -v[48:49]
	v_fmac_f64_e32 v[42:43], v[44:45], v[46:47]
	s_delay_alu instid0(VALU_DEP_1) | instskip(NEXT) | instid1(VALU_DEP_1)
	v_add_f64_e32 v[44:45], v[48:49], v[42:43]
	v_add_f64_e64 v[46:47], v[44:45], -v[48:49]
	s_delay_alu instid0(VALU_DEP_1) | instskip(SKIP_1) | instid1(VALU_DEP_2)
	v_add_f64_e64 v[42:43], v[42:43], -v[46:47]
	v_add_f64_e32 v[46:47], 0x3fe5555555555555, v[44:45]
	v_add_f64_e32 v[42:43], 0x3c8543b0d5df274d, v[42:43]
	s_delay_alu instid0(VALU_DEP_2) | instskip(NEXT) | instid1(VALU_DEP_1)
	v_add_f64_e32 v[48:49], 0xbfe5555555555555, v[46:47]
	v_add_f64_e64 v[44:45], v[44:45], -v[48:49]
	s_delay_alu instid0(VALU_DEP_1) | instskip(NEXT) | instid1(VALU_DEP_1)
	v_add_f64_e32 v[42:43], v[42:43], v[44:45]
	v_add_f64_e32 v[44:45], v[46:47], v[42:43]
	s_delay_alu instid0(VALU_DEP_1) | instskip(NEXT) | instid1(VALU_DEP_1)
	v_add_f64_e64 v[46:47], v[46:47], -v[44:45]
	v_add_f64_e32 v[42:43], v[42:43], v[46:47]
	v_mul_f64_e32 v[46:47], v[10:11], v[44:45]
	s_delay_alu instid0(VALU_DEP_1) | instskip(NEXT) | instid1(VALU_DEP_1)
	v_fma_f64 v[48:49], v[10:11], v[44:45], -v[46:47]
	v_fmac_f64_e32 v[48:49], v[10:11], v[42:43]
	s_delay_alu instid0(VALU_DEP_1) | instskip(NEXT) | instid1(VALU_DEP_1)
	v_fmac_f64_e32 v[48:49], v[40:41], v[44:45]
	v_add_f64_e32 v[10:11], v[46:47], v[48:49]
	s_delay_alu instid0(VALU_DEP_1) | instskip(SKIP_1) | instid1(VALU_DEP_2)
	v_add_f64_e64 v[40:41], v[10:11], -v[46:47]
	v_add_f64_e32 v[42:43], v[20:21], v[10:11]
	v_add_f64_e64 v[40:41], v[48:49], -v[40:41]
	s_delay_alu instid0(VALU_DEP_2) | instskip(NEXT) | instid1(VALU_DEP_2)
	v_add_f64_e64 v[20:21], v[42:43], -v[20:21]
	v_add_f64_e32 v[18:19], v[18:19], v[40:41]
	s_delay_alu instid0(VALU_DEP_2) | instskip(NEXT) | instid1(VALU_DEP_1)
	v_add_f64_e64 v[10:11], v[10:11], -v[20:21]
	v_add_f64_e32 v[10:11], v[18:19], v[10:11]
	s_delay_alu instid0(VALU_DEP_1) | instskip(NEXT) | instid1(VALU_DEP_1)
	v_add_f64_e32 v[18:19], v[42:43], v[10:11]
	v_add_f64_e64 v[20:21], v[18:19], -v[42:43]
	s_delay_alu instid0(VALU_DEP_1) | instskip(SKIP_1) | instid1(VALU_DEP_1)
	v_add_f64_e64 v[10:11], v[10:11], -v[20:21]
	v_add_f64_e32 v[20:21], v[16:17], v[18:19]
	v_add_f64_e64 v[40:41], v[20:21], -v[16:17]
	s_delay_alu instid0(VALU_DEP_1) | instskip(SKIP_1) | instid1(VALU_DEP_2)
	v_add_f64_e64 v[42:43], v[20:21], -v[40:41]
	v_add_f64_e64 v[18:19], v[18:19], -v[40:41]
	v_add_f64_e64 v[16:17], v[16:17], -v[42:43]
	s_delay_alu instid0(VALU_DEP_1) | instskip(SKIP_1) | instid1(VALU_DEP_1)
	v_add_f64_e32 v[16:17], v[18:19], v[16:17]
	v_add_f64_e32 v[18:19], v[14:15], v[10:11]
	v_add_f64_e64 v[40:41], v[18:19], -v[14:15]
	s_delay_alu instid0(VALU_DEP_1) | instskip(SKIP_1) | instid1(VALU_DEP_2)
	v_add_f64_e64 v[42:43], v[18:19], -v[40:41]
	v_add_f64_e64 v[10:11], v[10:11], -v[40:41]
	;; [unrolled: 1-line block ×3, first 2 shown]
	s_delay_alu instid0(VALU_DEP_1) | instskip(SKIP_1) | instid1(VALU_DEP_1)
	v_add_f64_e32 v[10:11], v[10:11], v[14:15]
	v_add_f64_e32 v[14:15], v[18:19], v[16:17]
	;; [unrolled: 1-line block ×3, first 2 shown]
	s_delay_alu instid0(VALU_DEP_1) | instskip(NEXT) | instid1(VALU_DEP_1)
	v_add_f64_e64 v[18:19], v[16:17], -v[20:21]
	v_add_f64_e64 v[14:15], v[14:15], -v[18:19]
	s_delay_alu instid0(VALU_DEP_1) | instskip(NEXT) | instid1(VALU_DEP_1)
	v_add_f64_e32 v[10:11], v[10:11], v[14:15]
	v_add_f64_e32 v[14:15], v[16:17], v[10:11]
	s_delay_alu instid0(VALU_DEP_1) | instskip(NEXT) | instid1(VALU_DEP_1)
	v_add_f64_e64 v[16:17], v[14:15], -v[16:17]
	v_add_f64_e64 v[10:11], v[10:11], -v[16:17]
	v_mul_f64_e32 v[16:17], s[2:3], v[14:15]
	s_delay_alu instid0(VALU_DEP_1) | instskip(SKIP_1) | instid1(VALU_DEP_2)
	v_fma_f64 v[14:15], s[2:3], v[14:15], -v[16:17]
	v_cmp_class_f64_e64 vcc_lo, v[16:17], 0x204
	v_fmac_f64_e32 v[14:15], s[2:3], v[10:11]
	s_delay_alu instid0(VALU_DEP_1) | instskip(NEXT) | instid1(VALU_DEP_1)
	v_add_f64_e32 v[10:11], v[16:17], v[14:15]
	v_add_f64_e64 v[18:19], v[10:11], -v[16:17]
	v_dual_cndmask_b32 v11, v11, v17 :: v_dual_cndmask_b32 v10, v10, v16
	s_delay_alu instid0(VALU_DEP_1) | instskip(SKIP_3) | instid1(VALU_DEP_4)
	v_mul_f64_e32 v[16:17], 0x3ff71547652b82fe, v[10:11]
	v_cmp_neq_f64_e64 vcc_lo, 0x7ff00000, |v[10:11]|
	v_cmp_ngt_f64_e64 s1, 0xc090cc00, v[10:11]
	v_add_f64_e64 v[14:15], v[14:15], -v[18:19]
	v_rndne_f64_e32 v[16:17], v[16:17]
	s_delay_alu instid0(VALU_DEP_2) | instskip(SKIP_1) | instid1(VALU_DEP_3)
	v_dual_cndmask_b32 v15, 0, v15 :: v_dual_cndmask_b32 v14, 0, v14
	v_cmp_nlt_f64_e32 vcc_lo, 0x40900000, v[10:11]
	v_fmamk_f64 v[18:19], v[16:17], 0xbfe62e42fefa39ef, v[10:11]
	v_cvt_i32_f64_e32 v2, v[16:17]
	s_delay_alu instid0(VALU_DEP_2) | instskip(SKIP_1) | instid1(SALU_CYCLE_1)
	v_fmac_f64_e32 v[18:19], 0xbc7abc9e3b39803f, v[16:17]
	s_and_b32 s21, s1, vcc_lo
	s_and_b32 s21, s21, exec_lo
	s_delay_alu instid0(VALU_DEP_1) | instskip(NEXT) | instid1(VALU_DEP_1)
	v_fmamk_f64 v[20:21], v[18:19], 0x3e5ade156a5dcb37, v[54:55]
	v_fmaak_f64 v[20:21], v[18:19], v[20:21], 0x3ec71dee623fde64
	s_delay_alu instid0(VALU_DEP_1) | instskip(NEXT) | instid1(VALU_DEP_1)
	v_fmaak_f64 v[20:21], v[18:19], v[20:21], 0x3efa01997c89e6b0
	v_fmaak_f64 v[20:21], v[18:19], v[20:21], 0x3f2a01a014761f6e
	s_delay_alu instid0(VALU_DEP_1) | instskip(NEXT) | instid1(VALU_DEP_1)
	v_fmaak_f64 v[20:21], v[18:19], v[20:21], 0x3f56c16c1852b7b0
	;; [unrolled: 3-line block ×4, first 2 shown]
	v_fma_f64 v[20:21], v[18:19], v[20:21], 1.0
	s_delay_alu instid0(VALU_DEP_1) | instskip(NEXT) | instid1(VALU_DEP_1)
	v_fma_f64 v[18:19], v[18:19], v[20:21], 1.0
	v_ldexp_f64 v[16:17], v[18:19], v2
	s_delay_alu instid0(VALU_DEP_1) | instskip(NEXT) | instid1(VALU_DEP_2)
	v_readfirstlane_b32 s20, v16
	v_cndmask_b32_e32 v2, 0x7ff00000, v17, vcc_lo
	s_cselect_b32 s20, s20, 0
	s_delay_alu instid0(VALU_DEP_1) | instid1(SALU_CYCLE_1)
	v_dual_cndmask_b32 v11, 0, v2, s1 :: v_dual_mov_b32 v10, s20
	s_delay_alu instid0(VALU_DEP_1) | instskip(SKIP_1) | instid1(VALU_DEP_2)
	v_fma_f64 v[14:15], v[10:11], v[14:15], v[10:11]
	v_cmp_class_f64_e64 vcc_lo, v[10:11], 0x204
	v_readfirstlane_b32 s1, v14
	s_delay_alu instid0(VALU_DEP_3) | instskip(SKIP_3) | instid1(VALU_DEP_1)
	v_cndmask_b32_e32 v2, v15, v11, vcc_lo
	v_trunc_f64_e32 v[10:11], s[2:3]
	s_and_b32 s21, vcc_lo, exec_lo
	s_cselect_b32 s20, s20, s1
	v_cmp_eq_f64_e32 vcc_lo, s[2:3], v[10:11]
	v_mul_f64_e64 v[10:11], s[2:3], 0.5
	v_cmp_gt_f64_e64 s2, 0, v[6:7]
	s_delay_alu instid0(VALU_DEP_2) | instskip(NEXT) | instid1(VALU_DEP_1)
	v_trunc_f64_e32 v[14:15], v[10:11]
	v_cmp_neq_f64_e64 s1, v[14:15], v[10:11]
	s_and_b32 s1, vcc_lo, s1
	s_and_b32 s3, vcc_lo, exec_lo
	v_cndmask_b32_e64 v3, 0x3ff00000, v7, s1
	s_cselect_b32 s3, s20, 0
	s_and_b32 s21, s2, exec_lo
	s_cselect_b32 s3, s3, s20
	s_delay_alu instid0(VALU_DEP_1) | instskip(NEXT) | instid1(VALU_DEP_1)
	v_bfi_b32 v2, 0x7fffffff, v2, v3
	v_cndmask_b32_e32 v3, 0x7ff80000, v2, vcc_lo
	v_cmp_eq_f64_e32 vcc_lo, 0, v[6:7]
	s_delay_alu instid0(VALU_DEP_2)
	v_cndmask_b32_e64 v2, v2, v3, s2
	v_cmp_class_f64_e64 s2, v[6:7], 0x204
	v_cndmask_b32_e64 v3, 0, v7, s1
	s_or_b32 s2, vcc_lo, s2
	s_and_b32 s20, vcc_lo, exec_lo
	v_cmp_o_f64_e32 vcc_lo, v[6:7], v[6:7]
	s_cselect_b32 s20, 0, 0x7ff00000
	s_and_b32 s1, s2, exec_lo
	v_bfi_b32 v3, 0x7fffffff, s20, v3
	s_cselect_b32 s1, 0, s3
	s_delay_alu instid0(VALU_DEP_1) | instskip(SKIP_2) | instid1(VALU_DEP_1)
	v_cndmask_b32_e64 v2, v2, v3, s2
	s_and_b32 s2, vcc_lo, exec_lo
	s_cselect_b32 s1, s1, 0
	v_cndmask_b32_e32 v7, 0x7ff80000, v2, vcc_lo
	v_mov_b32_e32 v6, s1
	s_delay_alu instid0(VALU_DEP_1) | instskip(SKIP_1) | instid1(VALU_DEP_1)
	v_fma_f64 v[20:21], v[6:7], v[0:1], 1.0
	v_add_f64_e64 v[0:1], -s[8:9], 1.0
	v_cmp_eq_f64_e32 vcc_lo, 1.0, v[0:1]
	v_frexp_mant_f64_e64 v[6:7], |v[0:1]|
	v_frexp_exp_i32_f64_e32 v2, v[0:1]
	s_and_b32 s1, vcc_lo, exec_lo
	s_delay_alu instid0(VALU_DEP_2) | instskip(SKIP_3) | instid1(VALU_DEP_3)
	v_cmp_gt_f64_e32 vcc_lo, s[14:15], v[6:7]
	s_cselect_b32 s3, s4, 0x3fd55555
	s_cselect_b32 s2, 0, 0x55555555
	v_cndmask_b32_e64 v3, 0, 1, vcc_lo
	v_subrev_co_ci_u32_e64 v2, null, 0, v2, vcc_lo
	s_delay_alu instid0(VALU_DEP_2) | instskip(NEXT) | instid1(VALU_DEP_1)
	v_ldexp_f64 v[6:7], v[6:7], v3
	v_add_f64_e32 v[14:15], 1.0, v[6:7]
	v_add_f64_e32 v[10:11], -1.0, v[6:7]
	s_delay_alu instid0(VALU_DEP_2) | instskip(NEXT) | instid1(VALU_DEP_1)
	v_add_f64_e32 v[16:17], -1.0, v[14:15]
	v_add_f64_e64 v[6:7], v[6:7], -v[16:17]
	v_rcp_f64_e32 v[16:17], v[14:15]
	v_nop
	s_delay_alu instid0(TRANS32_DEP_1) | instskip(NEXT) | instid1(VALU_DEP_1)
	v_fma_f64 v[18:19], -v[14:15], v[16:17], 1.0
	v_fmac_f64_e32 v[16:17], v[18:19], v[16:17]
	s_delay_alu instid0(VALU_DEP_1) | instskip(NEXT) | instid1(VALU_DEP_1)
	v_fma_f64 v[18:19], -v[14:15], v[16:17], 1.0
	v_fmac_f64_e32 v[16:17], v[18:19], v[16:17]
	s_delay_alu instid0(VALU_DEP_1) | instskip(NEXT) | instid1(VALU_DEP_1)
	v_mul_f64_e32 v[18:19], v[10:11], v[16:17]
	v_mul_f64_e32 v[40:41], v[14:15], v[18:19]
	s_delay_alu instid0(VALU_DEP_1) | instskip(NEXT) | instid1(VALU_DEP_1)
	v_fma_f64 v[14:15], v[18:19], v[14:15], -v[40:41]
	v_fmac_f64_e32 v[14:15], v[18:19], v[6:7]
	s_delay_alu instid0(VALU_DEP_1) | instskip(NEXT) | instid1(VALU_DEP_1)
	v_add_f64_e32 v[6:7], v[40:41], v[14:15]
	v_add_f64_e64 v[42:43], v[10:11], -v[6:7]
	v_add_f64_e64 v[40:41], v[6:7], -v[40:41]
	s_delay_alu instid0(VALU_DEP_2) | instskip(NEXT) | instid1(VALU_DEP_1)
	v_add_f64_e64 v[10:11], v[10:11], -v[42:43]
	v_add_f64_e64 v[6:7], v[10:11], -v[6:7]
	s_delay_alu instid0(VALU_DEP_3) | instskip(NEXT) | instid1(VALU_DEP_1)
	v_add_f64_e64 v[10:11], v[40:41], -v[14:15]
	v_add_f64_e32 v[6:7], v[10:11], v[6:7]
	s_delay_alu instid0(VALU_DEP_1) | instskip(NEXT) | instid1(VALU_DEP_1)
	v_add_f64_e32 v[6:7], v[42:43], v[6:7]
	v_mul_f64_e32 v[6:7], v[16:17], v[6:7]
	s_delay_alu instid0(VALU_DEP_1) | instskip(NEXT) | instid1(VALU_DEP_1)
	v_add_f64_e32 v[10:11], v[18:19], v[6:7]
	v_add_f64_e64 v[14:15], v[10:11], -v[18:19]
	s_delay_alu instid0(VALU_DEP_1) | instskip(SKIP_1) | instid1(VALU_DEP_2)
	v_add_f64_e64 v[40:41], v[6:7], -v[14:15]
	v_mul_f64_e32 v[6:7], v[10:11], v[10:11]
	v_add_f64_e32 v[16:17], v[40:41], v[40:41]
	s_delay_alu instid0(VALU_DEP_2) | instskip(NEXT) | instid1(VALU_DEP_1)
	v_fma_f64 v[14:15], v[10:11], v[10:11], -v[6:7]
	v_fmac_f64_e32 v[14:15], v[10:11], v[16:17]
	s_delay_alu instid0(VALU_DEP_1) | instskip(NEXT) | instid1(VALU_DEP_1)
	v_add_f64_e32 v[42:43], v[6:7], v[14:15]
	v_add_f64_e64 v[6:7], v[42:43], -v[6:7]
	v_mul_f64_e32 v[48:49], v[10:11], v[42:43]
	s_delay_alu instid0(VALU_DEP_2) | instskip(SKIP_1) | instid1(VALU_DEP_3)
	v_add_f64_e64 v[44:45], v[14:15], -v[6:7]
	v_fmamk_f64 v[6:7], v[42:43], 0x3fbdee674222de17, v[4:5]
	v_fma_f64 v[52:53], v[42:43], v[10:11], -v[48:49]
	s_delay_alu instid0(VALU_DEP_2) | instskip(NEXT) | instid1(VALU_DEP_1)
	v_fmaak_f64 v[6:7], v[42:43], v[6:7], 0x3fbe25e43abe935a
	v_fmaak_f64 v[6:7], v[42:43], v[6:7], 0x3fc110ef47e6c9c2
	s_delay_alu instid0(VALU_DEP_1) | instskip(NEXT) | instid1(VALU_DEP_1)
	v_fmaak_f64 v[6:7], v[42:43], v[6:7], 0x3fc3b13bcfa74449
	v_fmaak_f64 v[6:7], v[42:43], v[6:7], 0x3fc745d171bf3c30
	v_fmac_f64_e32 v[52:53], v[42:43], v[40:41]
	s_delay_alu instid0(VALU_DEP_2) | instskip(NEXT) | instid1(VALU_DEP_1)
	v_fmaak_f64 v[6:7], v[42:43], v[6:7], 0x3fcc71c71c7792ce
	v_fmaak_f64 v[6:7], v[42:43], v[6:7], 0x3fd24924924920da
	s_delay_alu instid0(VALU_DEP_1) | instskip(SKIP_2) | instid1(VALU_DEP_2)
	v_fmaak_f64 v[46:47], v[42:43], v[6:7], 0x3fd999999999999c
	v_cvt_f64_i32_e32 v[6:7], v2
	v_fmac_f64_e32 v[52:53], v[44:45], v[10:11]
	v_mul_f64_e32 v[16:17], 0x3fe62e42fefa39ef, v[6:7]
	s_delay_alu instid0(VALU_DEP_1) | instskip(NEXT) | instid1(VALU_DEP_1)
	v_fma_f64 v[18:19], v[6:7], s[16:17], -v[16:17]
	v_fmac_f64_e32 v[18:19], 0x3c7abc9e3b39803f, v[6:7]
	s_delay_alu instid0(VALU_DEP_1) | instskip(NEXT) | instid1(VALU_DEP_1)
	v_add_f64_e32 v[14:15], v[16:17], v[18:19]
	v_add_f64_e64 v[6:7], v[14:15], -v[16:17]
	v_ldexp_f64 v[16:17], v[40:41], 1
	s_delay_alu instid0(VALU_DEP_2) | instskip(SKIP_2) | instid1(VALU_DEP_1)
	v_add_f64_e64 v[6:7], v[18:19], -v[6:7]
	v_ldexp_f64 v[18:19], v[10:11], 1
	v_add_f64_e32 v[10:11], v[48:49], v[52:53]
	v_add_f64_e64 v[40:41], v[10:11], -v[48:49]
	s_delay_alu instid0(VALU_DEP_1) | instskip(SKIP_1) | instid1(VALU_DEP_1)
	v_add_f64_e64 v[48:49], v[52:53], -v[40:41]
	v_mul_f64_e32 v[40:41], v[42:43], v[46:47]
	v_fma_f64 v[42:43], v[42:43], v[46:47], -v[40:41]
	s_delay_alu instid0(VALU_DEP_1) | instskip(NEXT) | instid1(VALU_DEP_1)
	v_fmac_f64_e32 v[42:43], v[44:45], v[46:47]
	v_add_f64_e32 v[44:45], v[40:41], v[42:43]
	s_delay_alu instid0(VALU_DEP_1) | instskip(NEXT) | instid1(VALU_DEP_1)
	v_add_f64_e64 v[40:41], v[44:45], -v[40:41]
	v_add_f64_e64 v[40:41], v[42:43], -v[40:41]
	v_add_f64_e32 v[42:43], 0x3fe5555555555555, v[44:45]
	s_delay_alu instid0(VALU_DEP_2) | instskip(NEXT) | instid1(VALU_DEP_2)
	v_add_f64_e32 v[40:41], 0x3c8543b0d5df274d, v[40:41]
	v_add_f64_e32 v[46:47], 0xbfe5555555555555, v[42:43]
	s_delay_alu instid0(VALU_DEP_1) | instskip(NEXT) | instid1(VALU_DEP_1)
	v_add_f64_e64 v[44:45], v[44:45], -v[46:47]
	v_add_f64_e32 v[40:41], v[40:41], v[44:45]
	s_delay_alu instid0(VALU_DEP_1) | instskip(NEXT) | instid1(VALU_DEP_1)
	v_add_f64_e32 v[44:45], v[42:43], v[40:41]
	v_add_f64_e64 v[42:43], v[42:43], -v[44:45]
	s_delay_alu instid0(VALU_DEP_1) | instskip(SKIP_1) | instid1(VALU_DEP_1)
	v_add_f64_e32 v[46:47], v[40:41], v[42:43]
	v_mul_f64_e32 v[40:41], v[10:11], v[44:45]
	v_fma_f64 v[42:43], v[10:11], v[44:45], -v[40:41]
	s_delay_alu instid0(VALU_DEP_1) | instskip(NEXT) | instid1(VALU_DEP_1)
	v_fmac_f64_e32 v[42:43], v[10:11], v[46:47]
	v_fmac_f64_e32 v[42:43], v[48:49], v[44:45]
	s_delay_alu instid0(VALU_DEP_1) | instskip(NEXT) | instid1(VALU_DEP_1)
	v_add_f64_e32 v[10:11], v[40:41], v[42:43]
	v_add_f64_e64 v[40:41], v[10:11], -v[40:41]
	s_delay_alu instid0(VALU_DEP_1) | instskip(SKIP_1) | instid1(VALU_DEP_2)
	v_add_f64_e64 v[40:41], v[42:43], -v[40:41]
	v_add_f64_e32 v[42:43], v[18:19], v[10:11]
	v_add_f64_e32 v[16:17], v[16:17], v[40:41]
	s_delay_alu instid0(VALU_DEP_2) | instskip(NEXT) | instid1(VALU_DEP_1)
	v_add_f64_e64 v[18:19], v[42:43], -v[18:19]
	v_add_f64_e64 v[10:11], v[10:11], -v[18:19]
	s_delay_alu instid0(VALU_DEP_1) | instskip(NEXT) | instid1(VALU_DEP_1)
	v_add_f64_e32 v[10:11], v[16:17], v[10:11]
	v_add_f64_e32 v[40:41], v[42:43], v[10:11]
	s_delay_alu instid0(VALU_DEP_1) | instskip(NEXT) | instid1(VALU_DEP_1)
	v_add_f64_e64 v[16:17], v[40:41], -v[42:43]
	v_add_f64_e64 v[18:19], v[10:11], -v[16:17]
	v_add_f64_e32 v[16:17], v[14:15], v[40:41]
	s_delay_alu instid0(VALU_DEP_1) | instskip(NEXT) | instid1(VALU_DEP_1)
	v_add_f64_e64 v[10:11], v[16:17], -v[14:15]
	v_add_f64_e64 v[42:43], v[16:17], -v[10:11]
	v_add_f64_e64 v[10:11], v[40:41], -v[10:11]
	v_add_f64_e32 v[40:41], v[6:7], v[18:19]
	s_delay_alu instid0(VALU_DEP_3) | instskip(NEXT) | instid1(VALU_DEP_1)
	v_add_f64_e64 v[14:15], v[14:15], -v[42:43]
	v_add_f64_e32 v[10:11], v[10:11], v[14:15]
	s_delay_alu instid0(VALU_DEP_3) | instskip(NEXT) | instid1(VALU_DEP_2)
	v_add_f64_e64 v[14:15], v[40:41], -v[6:7]
	v_add_f64_e32 v[10:11], v[40:41], v[10:11]
	s_delay_alu instid0(VALU_DEP_2) | instskip(SKIP_1) | instid1(VALU_DEP_2)
	v_add_f64_e64 v[42:43], v[40:41], -v[14:15]
	v_dual_add_f64 v[14:15], v[18:19], -v[14:15] :: v_dual_mov_b32 v40, 0
	v_add_f64_e64 v[6:7], v[6:7], -v[42:43]
	s_delay_alu instid0(VALU_DEP_1) | instskip(SKIP_1) | instid1(VALU_DEP_1)
	v_add_f64_e32 v[14:15], v[14:15], v[6:7]
	v_add_f64_e32 v[6:7], v[16:17], v[10:11]
	v_add_f64_e64 v[16:17], v[6:7], -v[16:17]
	s_delay_alu instid0(VALU_DEP_1) | instskip(NEXT) | instid1(VALU_DEP_1)
	v_add_f64_e64 v[16:17], v[10:11], -v[16:17]
	v_add_f64_e32 v[14:15], v[14:15], v[16:17]
	s_delay_alu instid0(VALU_DEP_1) | instskip(NEXT) | instid1(VALU_DEP_1)
	v_add_f64_e32 v[16:17], v[6:7], v[14:15]
	v_add_f64_e64 v[6:7], v[16:17], -v[6:7]
	s_delay_alu instid0(VALU_DEP_1) | instskip(SKIP_1) | instid1(VALU_DEP_1)
	v_add_f64_e64 v[14:15], v[14:15], -v[6:7]
	v_mul_f64_e32 v[6:7], s[2:3], v[16:17]
	v_fma_f64 v[16:17], s[2:3], v[16:17], -v[6:7]
	v_cmp_class_f64_e64 vcc_lo, v[6:7], 0x204
	s_delay_alu instid0(VALU_DEP_2) | instskip(NEXT) | instid1(VALU_DEP_1)
	v_fmac_f64_e32 v[16:17], s[2:3], v[14:15]
	v_add_f64_e32 v[14:15], v[6:7], v[16:17]
	s_delay_alu instid0(VALU_DEP_1) | instskip(SKIP_1) | instid1(VALU_DEP_1)
	v_add_f64_e64 v[10:11], v[14:15], -v[6:7]
	v_dual_cndmask_b32 v15, v15, v7 :: v_dual_cndmask_b32 v14, v14, v6
	v_cmp_neq_f64_e64 vcc_lo, 0x7ff00000, |v[14:15]|
	v_cmp_ngt_f64_e64 s1, 0xc090cc00, v[14:15]
	s_delay_alu instid0(VALU_DEP_4) | instskip(SKIP_1) | instid1(VALU_DEP_2)
	v_add_f64_e64 v[16:17], v[16:17], -v[10:11]
	v_mul_f64_e32 v[10:11], 0x3ff71547652b82fe, v[14:15]
	v_cndmask_b32_e32 v7, 0, v17, vcc_lo
	s_delay_alu instid0(VALU_DEP_2) | instskip(NEXT) | instid1(VALU_DEP_4)
	v_rndne_f64_e32 v[10:11], v[10:11]
	v_cndmask_b32_e32 v6, 0, v16, vcc_lo
	v_cmp_nlt_f64_e32 vcc_lo, 0x40900000, v[14:15]
	s_delay_alu instid0(VALU_DEP_3) | instskip(SKIP_2) | instid1(SALU_CYCLE_1)
	v_fmamk_f64 v[16:17], v[10:11], 0xbfe62e42fefa39ef, v[14:15]
	v_cvt_i32_f64_e32 v2, v[10:11]
	s_and_b32 s20, s1, vcc_lo
	s_and_b32 s20, s20, exec_lo
	s_delay_alu instid0(VALU_DEP_2) | instskip(NEXT) | instid1(VALU_DEP_1)
	v_fmac_f64_e32 v[16:17], 0xbc7abc9e3b39803f, v[10:11]
	v_fmamk_f64 v[18:19], v[16:17], 0x3e5ade156a5dcb37, v[54:55]
	s_delay_alu instid0(VALU_DEP_1) | instskip(NEXT) | instid1(VALU_DEP_1)
	v_fmaak_f64 v[18:19], v[16:17], v[18:19], 0x3ec71dee623fde64
	v_fmaak_f64 v[18:19], v[16:17], v[18:19], 0x3efa01997c89e6b0
	s_delay_alu instid0(VALU_DEP_1) | instskip(NEXT) | instid1(VALU_DEP_1)
	v_fmaak_f64 v[18:19], v[16:17], v[18:19], 0x3f2a01a014761f6e
	v_fmaak_f64 v[18:19], v[16:17], v[18:19], 0x3f56c16c1852b7b0
	;; [unrolled: 3-line block ×4, first 2 shown]
	s_delay_alu instid0(VALU_DEP_1) | instskip(NEXT) | instid1(VALU_DEP_1)
	v_fma_f64 v[18:19], v[16:17], v[18:19], 1.0
	v_fma_f64 v[16:17], v[16:17], v[18:19], 1.0
	s_delay_alu instid0(VALU_DEP_1) | instskip(NEXT) | instid1(VALU_DEP_1)
	v_ldexp_f64 v[10:11], v[16:17], v2
	v_readfirstlane_b32 s4, v10
	s_delay_alu instid0(VALU_DEP_2)
	v_cndmask_b32_e32 v2, 0x7ff00000, v11, vcc_lo
	s_cselect_b32 s4, s4, 0
	s_delay_alu instid0(VALU_DEP_1) | instid1(SALU_CYCLE_1)
	v_dual_cndmask_b32 v11, 0, v2, s1 :: v_dual_mov_b32 v10, s4
	s_delay_alu instid0(VALU_DEP_1) | instskip(SKIP_1) | instid1(VALU_DEP_2)
	v_fma_f64 v[6:7], v[10:11], v[6:7], v[10:11]
	v_cmp_class_f64_e64 vcc_lo, v[10:11], 0x204
	v_readfirstlane_b32 s1, v6
	s_delay_alu instid0(VALU_DEP_3) | instskip(SKIP_3) | instid1(VALU_DEP_1)
	v_cndmask_b32_e32 v2, v7, v11, vcc_lo
	v_trunc_f64_e32 v[6:7], s[2:3]
	s_and_b32 s20, vcc_lo, exec_lo
	s_cselect_b32 s4, s4, s1
	v_cmp_eq_f64_e32 vcc_lo, s[2:3], v[6:7]
	v_mul_f64_e64 v[6:7], s[2:3], 0.5
	v_cmp_gt_f64_e64 s2, 0, v[0:1]
	s_delay_alu instid0(VALU_DEP_2) | instskip(NEXT) | instid1(VALU_DEP_1)
	v_trunc_f64_e32 v[10:11], v[6:7]
	v_cmp_neq_f64_e64 s1, v[10:11], v[6:7]
	v_mul_f64_e64 v[6:7], 0x40080000, s[8:9]
	s_and_b32 s1, vcc_lo, s1
	s_and_b32 s3, vcc_lo, exec_lo
	v_cndmask_b32_e64 v3, 0x3ff00000, v1, s1
	s_cselect_b32 s3, s4, 0
	s_and_b32 s20, s2, exec_lo
	s_cselect_b32 s3, s3, s4
	s_mov_b64 s[20:21], 0x3ff921fb54442d18
	v_bfi_b32 v2, 0x7fffffff, v2, v3
	s_delay_alu instid0(VALU_DEP_1) | instskip(SKIP_1) | instid1(VALU_DEP_2)
	v_cndmask_b32_e32 v3, 0x7ff80000, v2, vcc_lo
	v_cmp_eq_f64_e32 vcc_lo, 0, v[0:1]
	v_cndmask_b32_e64 v2, v2, v3, s2
	v_cmp_class_f64_e64 s2, v[0:1], 0x204
	v_cndmask_b32_e64 v3, 0, v1, s1
	s_or_b32 s2, vcc_lo, s2
	s_and_b32 s4, vcc_lo, exec_lo
	v_cmp_o_f64_e32 vcc_lo, v[0:1], v[0:1]
	s_cselect_b32 s4, 0, 0x7ff00000
	s_and_b32 s1, s2, exec_lo
	v_bfi_b32 v3, 0x7fffffff, s4, v3
	s_cselect_b32 s1, 0, s3
	s_delay_alu instid0(VALU_DEP_1) | instskip(SKIP_2) | instid1(VALU_DEP_1)
	v_cndmask_b32_e64 v2, v2, v3, s2
	s_and_b32 s2, vcc_lo, exec_lo
	s_cselect_b32 s1, s1, 0
	v_cndmask_b32_e32 v1, 0x7ff80000, v2, vcc_lo
	v_dual_mov_b32 v0, s1 :: v_dual_bitop2_b32 v2, 1, v80 bitop3:0x40
	s_delay_alu instid0(VALU_DEP_1) | instskip(NEXT) | instid1(VALU_DEP_1)
	v_add_f64_e32 v[0:1], v[0:1], v[20:21]
	v_mul_f64_e32 v[10:11], v[0:1], v[0:1]
	s_delay_alu instid0(VALU_DEP_1) | instskip(NEXT) | instid1(VALU_DEP_1)
	v_fmac_f64_e32 v[10:11], s[8:9], v[6:7]
	v_cmp_gt_f64_e32 vcc_lo, 0x10000000, v[10:11]
	s_and_b32 s1, vcc_lo, exec_lo
	s_cselect_b32 s1, 0x100, 0
	s_delay_alu instid0(SALU_CYCLE_1) | instskip(SKIP_1) | instid1(VALU_DEP_1)
	v_ldexp_f64 v[6:7], v[10:11], s1
	s_cselect_b32 s1, 0xffffff80, 0
	v_rsq_f64_e32 v[10:11], v[6:7]
	v_cmp_class_f64_e64 vcc_lo, v[6:7], 0x260
	s_delay_alu instid0(TRANS32_DEP_1) | instskip(SKIP_1) | instid1(VALU_DEP_1)
	v_mul_f64_e32 v[14:15], v[6:7], v[10:11]
	v_mul_f64_e32 v[10:11], 0.5, v[10:11]
	v_fma_f64 v[16:17], -v[10:11], v[14:15], 0.5
	s_delay_alu instid0(VALU_DEP_1) | instskip(SKIP_1) | instid1(VALU_DEP_2)
	v_fmac_f64_e32 v[14:15], v[14:15], v[16:17]
	v_fmac_f64_e32 v[10:11], v[10:11], v[16:17]
	v_fma_f64 v[18:19], -v[14:15], v[14:15], v[6:7]
	s_delay_alu instid0(VALU_DEP_1) | instskip(NEXT) | instid1(VALU_DEP_1)
	v_fmac_f64_e32 v[14:15], v[18:19], v[10:11]
	v_fma_f64 v[16:17], -v[14:15], v[14:15], v[6:7]
	s_delay_alu instid0(VALU_DEP_1) | instskip(NEXT) | instid1(VALU_DEP_1)
	v_fmac_f64_e32 v[14:15], v[16:17], v[10:11]
	v_ldexp_f64 v[10:11], v[14:15], s1
	v_add_f64_e64 v[14:15], 0x40080000, -v[0:1]
	v_add_f64_e32 v[0:1], 0x40080000, v[0:1]
	s_delay_alu instid0(VALU_DEP_3) | instskip(NEXT) | instid1(VALU_DEP_1)
	v_dual_cndmask_b32 v7, v11, v7 :: v_dual_cndmask_b32 v6, v10, v6
	v_fmac_f64_e32 v[0:1], 2.0, v[6:7]
	v_add_f64_e32 v[10:11], 0x40080000, v[6:7]
	s_delay_alu instid0(VALU_DEP_2) | instskip(NEXT) | instid1(VALU_DEP_1)
	v_mul_f64_e32 v[0:1], v[14:15], v[0:1]
	v_cmp_gt_f64_e32 vcc_lo, 0x10000000, v[0:1]
	s_and_b32 s1, vcc_lo, exec_lo
	s_cselect_b32 s1, 0x100, 0
	s_delay_alu instid0(SALU_CYCLE_1) | instskip(SKIP_1) | instid1(VALU_DEP_1)
	v_ldexp_f64 v[0:1], v[0:1], s1
	s_cselect_b32 s1, 0xffffff80, 0
	v_rsq_f64_e32 v[6:7], v[0:1]
	v_cmp_class_f64_e64 vcc_lo, v[0:1], 0x260
	s_delay_alu instid0(TRANS32_DEP_1) | instskip(SKIP_1) | instid1(VALU_DEP_1)
	v_mul_f64_e32 v[14:15], v[0:1], v[6:7]
	v_mul_f64_e32 v[6:7], 0.5, v[6:7]
	v_fma_f64 v[16:17], -v[6:7], v[14:15], 0.5
	s_delay_alu instid0(VALU_DEP_1) | instskip(SKIP_1) | instid1(VALU_DEP_2)
	v_fmac_f64_e32 v[14:15], v[14:15], v[16:17]
	v_fmac_f64_e32 v[6:7], v[6:7], v[16:17]
	v_fma_f64 v[18:19], -v[14:15], v[14:15], v[0:1]
	s_delay_alu instid0(VALU_DEP_1) | instskip(NEXT) | instid1(VALU_DEP_1)
	v_fmac_f64_e32 v[14:15], v[18:19], v[6:7]
	v_fma_f64 v[16:17], -v[14:15], v[14:15], v[0:1]
	s_delay_alu instid0(VALU_DEP_1) | instskip(NEXT) | instid1(VALU_DEP_1)
	v_fmac_f64_e32 v[14:15], v[16:17], v[6:7]
	v_ldexp_f64 v[6:7], v[14:15], s1
	s_delay_alu instid0(VALU_DEP_1) | instskip(SKIP_2) | instid1(VALU_DEP_3)
	v_dual_cndmask_b32 v1, v7, v1 :: v_dual_cndmask_b32 v0, v6, v0
	v_cmp_eq_u32_e32 vcc_lo, 0, v2
	v_lshlrev_b32_e32 v2, 30, v80
	v_add_f64_e64 v[0:1], v[10:11], -v[0:1]
	s_delay_alu instid0(VALU_DEP_2) | instskip(NEXT) | instid1(VALU_DEP_2)
	v_xor_b32_e32 v2, v2, v93
	v_cvt_f32_f64_e32 v0, v[0:1]
	s_delay_alu instid0(VALU_DEP_1) | instskip(SKIP_1) | instid1(VALU_DEP_1)
	v_cvt_f64_f32_e32 v[4:5], v0
	v_mul_f64_e32 v[0:1], v[24:25], v[24:25]
	v_mul_f64_e32 v[6:7], 0.5, v[0:1]
	v_fmamk_f64 v[16:17], v[0:1], 0xbda907db46cc5e42, v[96:97]
	s_delay_alu instid0(VALU_DEP_1) | instskip(NEXT) | instid1(VALU_DEP_1)
	v_fmaak_f64 v[16:17], v[0:1], v[16:17], 0xbe927e4fa17f65f6
	v_fmaak_f64 v[16:17], v[0:1], v[16:17], 0x3efa01a019f4ec90
	s_delay_alu instid0(VALU_DEP_1) | instskip(NEXT) | instid1(VALU_DEP_1)
	v_fmaak_f64 v[16:17], v[0:1], v[16:17], 0xbf56c16c16c16967
	v_fmaak_f64 v[16:17], v[0:1], v[16:17], 0x3fa5555555555555
	v_add_f64_e64 v[10:11], -v[6:7], 1.0
	s_delay_alu instid0(VALU_DEP_1) | instskip(NEXT) | instid1(VALU_DEP_1)
	v_add_f64_e64 v[14:15], -v[10:11], 1.0
	v_add_f64_e64 v[6:7], v[14:15], -v[6:7]
	v_mul_f64_e32 v[14:15], v[0:1], v[0:1]
	s_delay_alu instid0(VALU_DEP_2) | instskip(NEXT) | instid1(VALU_DEP_1)
	v_fma_f64 v[6:7], v[24:25], -v[28:29], v[6:7]
	v_fmac_f64_e32 v[6:7], v[14:15], v[16:17]
	v_mul_f64_e64 v[14:15], v[24:25], -v[0:1]
	v_mul_f64_e32 v[16:17], 0.5, v[28:29]
	s_delay_alu instid0(VALU_DEP_3) | instskip(SKIP_1) | instid1(VALU_DEP_1)
	v_add_f64_e32 v[6:7], v[10:11], v[6:7]
	v_fmamk_f64 v[10:11], v[0:1], 0x3de5e0b2f9a43bb8, v[12:13]
	v_fmaak_f64 v[10:11], v[0:1], v[10:11], 0x3ec71de3796cde01
	s_delay_alu instid0(VALU_DEP_1) | instskip(NEXT) | instid1(VALU_DEP_1)
	v_fmaak_f64 v[10:11], v[0:1], v[10:11], 0xbf2a01a019e83e5c
	v_fmaak_f64 v[10:11], v[0:1], v[10:11], 0x3f81111111110bb3
	s_delay_alu instid0(VALU_DEP_1) | instskip(SKIP_1) | instid1(VALU_DEP_2)
	v_fmac_f64_e32 v[16:17], v[14:15], v[10:11]
	v_mul_f64_e32 v[10:11], v[30:31], v[38:39]
	v_fma_f64 v[0:1], v[0:1], v[16:17], -v[28:29]
	s_delay_alu instid0(VALU_DEP_1) | instskip(SKIP_1) | instid1(VALU_DEP_2)
	v_fmac_f64_e32 v[0:1], 0xbfc5555555555555, v[14:15]
	v_add_f64_e32 v[14:15], v[8:9], v[22:23]
	v_add_f64_e64 v[0:1], v[24:25], -v[0:1]
	s_delay_alu instid0(VALU_DEP_2) | instskip(NEXT) | instid1(VALU_DEP_2)
	v_div_scale_f64 v[16:17], null, v[14:15], v[14:15], v[10:11]
	v_cndmask_b32_e32 v0, v6, v0, vcc_lo
	s_delay_alu instid0(VALU_DEP_2) | instskip(NEXT) | instid1(VALU_DEP_3)
	v_rcp_f64_e32 v[18:19], v[16:17]
	v_dual_fma_f64 v[6:7], -2.0, v[74:75], v[30:31] :: v_dual_cndmask_b32 v1, v7, v1, vcc_lo
	s_delay_alu instid0(VALU_DEP_2) | instskip(NEXT) | instid1(VALU_DEP_2)
	v_cndmask_b32_e64 v0, 0, v0, s0
	v_bitop3_b32 v1, v1, v2, 0x80000000 bitop3:0x78
	s_delay_alu instid0(VALU_DEP_1) | instskip(NEXT) | instid1(VALU_DEP_1)
	v_cndmask_b32_e64 v1, 0x7ff80000, v1, s0
	v_mul_f64_e32 v[0:1], v[0:1], v[0:1]
	s_delay_alu instid0(TRANS32_DEP_1) | instskip(NEXT) | instid1(VALU_DEP_1)
	v_fma_f64 v[20:21], -v[16:17], v[18:19], 1.0
	v_fmac_f64_e32 v[18:19], v[18:19], v[20:21]
	s_delay_alu instid0(VALU_DEP_1) | instskip(NEXT) | instid1(VALU_DEP_1)
	v_fma_f64 v[20:21], -v[16:17], v[18:19], 1.0
	v_fmac_f64_e32 v[18:19], v[18:19], v[20:21]
	v_div_scale_f64 v[20:21], vcc_lo, v[10:11], v[14:15], v[10:11]
	s_delay_alu instid0(VALU_DEP_1) | instskip(NEXT) | instid1(VALU_DEP_1)
	v_mul_f64_e32 v[22:23], v[20:21], v[18:19]
	v_fma_f64 v[16:17], -v[16:17], v[22:23], v[20:21]
	v_mul_f64_e32 v[20:21], v[38:39], v[38:39]
	s_delay_alu instid0(VALU_DEP_2) | instskip(NEXT) | instid1(VALU_DEP_2)
	v_div_fmas_f64 v[16:17], v[16:17], v[18:19], v[22:23]
	v_div_scale_f64 v[22:23], null, v[14:15], v[14:15], v[20:21]
	s_delay_alu instid0(VALU_DEP_2) | instskip(NEXT) | instid1(VALU_DEP_2)
	v_div_fixup_f64 v[18:19], v[16:17], v[14:15], v[10:11]
	v_rcp_f64_e32 v[24:25], v[22:23]
	v_mul_f64_e32 v[16:17], v[30:31], v[36:37]
	s_delay_alu instid0(TRANS32_DEP_1) | instskip(NEXT) | instid1(VALU_DEP_1)
	v_fma_f64 v[10:11], -v[22:23], v[24:25], 1.0
	v_fmac_f64_e32 v[24:25], v[24:25], v[10:11]
	s_delay_alu instid0(VALU_DEP_1) | instskip(NEXT) | instid1(VALU_DEP_1)
	v_fma_f64 v[10:11], -v[22:23], v[24:25], 1.0
	v_fmac_f64_e32 v[24:25], v[24:25], v[10:11]
	v_div_scale_f64 v[10:11], vcc_lo, v[20:21], v[14:15], v[20:21]
	s_delay_alu instid0(VALU_DEP_1) | instskip(NEXT) | instid1(VALU_DEP_1)
	v_mul_f64_e32 v[28:29], v[10:11], v[24:25]
	v_fma_f64 v[10:11], -v[22:23], v[28:29], v[10:11]
	s_delay_alu instid0(VALU_DEP_1) | instskip(NEXT) | instid1(VALU_DEP_1)
	v_div_fmas_f64 v[10:11], v[10:11], v[24:25], v[28:29]
	v_div_fixup_f64 v[10:11], v[10:11], v[14:15], v[20:21]
	v_mul_f64_e32 v[20:21], v[14:15], v[0:1]
	v_mul_f64_e32 v[14:15], v[14:15], v[30:31]
	s_delay_alu instid0(VALU_DEP_3) | instskip(NEXT) | instid1(VALU_DEP_3)
	v_fmac_f64_e32 v[10:11], v[36:37], v[36:37]
	v_mul_f64_e32 v[20:21], v[26:27], v[20:21]
	s_delay_alu instid0(VALU_DEP_1) | instskip(NEXT) | instid1(VALU_DEP_1)
	v_mul_f64_e32 v[20:21], v[26:27], v[20:21]
	v_fmac_f64_e32 v[20:21], v[6:7], v[10:11]
	s_delay_alu instid0(VALU_DEP_1) | instskip(SKIP_1) | instid1(VALU_DEP_1)
	v_cmp_gt_f64_e32 vcc_lo, 0x10000000, v[20:21]
	v_cndmask_b32_e64 v2, 0, 0x100, vcc_lo
	v_ldexp_f64 v[10:11], v[20:21], v2
	v_cndmask_b32_e64 v2, 0, 0xffffff80, vcc_lo
	s_delay_alu instid0(VALU_DEP_2) | instskip(SKIP_1) | instid1(TRANS32_DEP_1)
	v_rsq_f64_e32 v[20:21], v[10:11]
	v_cmp_class_f64_e64 vcc_lo, v[10:11], 0x260
	v_mul_f64_e32 v[22:23], v[10:11], v[20:21]
	v_mul_f64_e32 v[20:21], 0.5, v[20:21]
	s_delay_alu instid0(VALU_DEP_1) | instskip(NEXT) | instid1(VALU_DEP_1)
	v_fma_f64 v[24:25], -v[20:21], v[22:23], 0.5
	v_fmac_f64_e32 v[22:23], v[22:23], v[24:25]
	v_fmac_f64_e32 v[20:21], v[20:21], v[24:25]
	s_delay_alu instid0(VALU_DEP_2) | instskip(NEXT) | instid1(VALU_DEP_1)
	v_fma_f64 v[28:29], -v[22:23], v[22:23], v[10:11]
	v_fmac_f64_e32 v[22:23], v[28:29], v[20:21]
	s_delay_alu instid0(VALU_DEP_1) | instskip(NEXT) | instid1(VALU_DEP_1)
	v_fma_f64 v[24:25], -v[22:23], v[22:23], v[10:11]
	v_fmac_f64_e32 v[22:23], v[24:25], v[20:21]
	s_delay_alu instid0(VALU_DEP_1) | instskip(SKIP_2) | instid1(VALU_DEP_1)
	v_ldexp_f64 v[20:21], v[22:23], v2
	scratch_load_b64 v[2:3], off, off offset:192 ; 8-byte Folded Reload
	v_dual_cndmask_b32 v21, v21, v11 :: v_dual_cndmask_b32 v20, v20, v10
	v_div_scale_f64 v[10:11], null, v[20:21], v[20:21], v[18:19]
	s_delay_alu instid0(VALU_DEP_1) | instskip(SKIP_1) | instid1(TRANS32_DEP_1)
	v_rcp_f64_e32 v[22:23], v[10:11]
	v_nop
	v_fma_f64 v[24:25], -v[10:11], v[22:23], 1.0
	s_delay_alu instid0(VALU_DEP_1) | instskip(NEXT) | instid1(VALU_DEP_1)
	v_fmac_f64_e32 v[22:23], v[22:23], v[24:25]
	v_fma_f64 v[24:25], -v[10:11], v[22:23], 1.0
	s_delay_alu instid0(VALU_DEP_1) | instskip(SKIP_1) | instid1(VALU_DEP_1)
	v_fmac_f64_e32 v[22:23], v[22:23], v[24:25]
	v_div_scale_f64 v[24:25], vcc_lo, v[18:19], v[20:21], v[18:19]
	v_mul_f64_e32 v[28:29], v[24:25], v[22:23]
	s_delay_alu instid0(VALU_DEP_1) | instskip(NEXT) | instid1(VALU_DEP_1)
	v_fma_f64 v[10:11], -v[10:11], v[28:29], v[24:25]
	v_div_fmas_f64 v[10:11], v[10:11], v[22:23], v[28:29]
	s_delay_alu instid0(VALU_DEP_1) | instskip(SKIP_1) | instid1(VALU_DEP_1)
	v_div_fixup_f64 v[126:127], v[10:11], v[20:21], v[18:19]
	v_div_scale_f64 v[10:11], null, v[20:21], v[20:21], v[16:17]
	v_rcp_f64_e32 v[18:19], v[10:11]
	v_nop
	s_delay_alu instid0(TRANS32_DEP_1) | instskip(NEXT) | instid1(VALU_DEP_1)
	v_fma_f64 v[24:25], -v[10:11], v[18:19], 1.0
	v_fmac_f64_e32 v[18:19], v[18:19], v[24:25]
	s_delay_alu instid0(VALU_DEP_1) | instskip(NEXT) | instid1(VALU_DEP_1)
	v_fma_f64 v[24:25], -v[10:11], v[18:19], 1.0
	v_fmac_f64_e32 v[18:19], v[18:19], v[24:25]
	v_div_scale_f64 v[24:25], vcc_lo, v[16:17], v[20:21], v[16:17]
	s_delay_alu instid0(VALU_DEP_1) | instskip(NEXT) | instid1(VALU_DEP_1)
	v_mul_f64_e32 v[28:29], v[24:25], v[18:19]
	v_fma_f64 v[10:11], -v[10:11], v[28:29], v[24:25]
	s_delay_alu instid0(VALU_DEP_1) | instskip(NEXT) | instid1(VALU_DEP_1)
	v_div_fmas_f64 v[10:11], v[10:11], v[18:19], v[28:29]
	v_div_fixup_f64 v[12:13], v[10:11], v[20:21], v[16:17]
	s_wait_loadcnt 0x0
	v_mul_f64_e32 v[10:11], v[2:3], v[74:75]
	s_delay_alu instid0(VALU_DEP_1) | instskip(NEXT) | instid1(VALU_DEP_1)
	v_mul_f64_e32 v[10:11], v[10:11], v[20:21]
	v_fma_f64 v[10:11], v[14:15], v[26:27], -v[10:11]
	s_delay_alu instid0(VALU_DEP_1) | instskip(NEXT) | instid1(VALU_DEP_1)
	v_mul_f64_e32 v[10:11], v[0:1], v[10:11]
	v_div_scale_f64 v[14:15], null, v[6:7], v[6:7], v[10:11]
	s_delay_alu instid0(VALU_DEP_1) | instskip(SKIP_1) | instid1(TRANS32_DEP_1)
	v_rcp_f64_e32 v[16:17], v[14:15]
	v_nop
	v_fma_f64 v[18:19], -v[14:15], v[16:17], 1.0
	s_delay_alu instid0(VALU_DEP_1) | instskip(NEXT) | instid1(VALU_DEP_1)
	v_fmac_f64_e32 v[16:17], v[16:17], v[18:19]
	v_fma_f64 v[18:19], -v[14:15], v[16:17], 1.0
	s_delay_alu instid0(VALU_DEP_1) | instskip(SKIP_1) | instid1(VALU_DEP_1)
	v_fmac_f64_e32 v[16:17], v[16:17], v[18:19]
	v_div_scale_f64 v[18:19], vcc_lo, v[10:11], v[6:7], v[10:11]
	v_mul_f64_e32 v[26:27], v[18:19], v[16:17]
	s_delay_alu instid0(VALU_DEP_1) | instskip(NEXT) | instid1(VALU_DEP_1)
	v_fma_f64 v[14:15], -v[14:15], v[26:27], v[18:19]
	v_div_fmas_f64 v[14:15], v[14:15], v[16:17], v[26:27]
	s_delay_alu instid0(VALU_DEP_1) | instskip(NEXT) | instid1(VALU_DEP_1)
	v_div_fixup_f64 v[6:7], v[14:15], v[6:7], v[10:11]
	v_div_scale_f64 v[10:11], null, v[20:21], v[20:21], v[6:7]
	s_delay_alu instid0(VALU_DEP_1) | instskip(SKIP_1) | instid1(TRANS32_DEP_1)
	v_rcp_f64_e32 v[14:15], v[10:11]
	v_nop
	v_fma_f64 v[16:17], -v[10:11], v[14:15], 1.0
	s_delay_alu instid0(VALU_DEP_1) | instskip(NEXT) | instid1(VALU_DEP_1)
	v_fmac_f64_e32 v[14:15], v[14:15], v[16:17]
	v_fma_f64 v[16:17], -v[10:11], v[14:15], 1.0
	s_delay_alu instid0(VALU_DEP_1) | instskip(SKIP_1) | instid1(VALU_DEP_1)
	v_fmac_f64_e32 v[14:15], v[14:15], v[16:17]
	v_div_scale_f64 v[16:17], vcc_lo, v[6:7], v[20:21], v[6:7]
	v_mul_f64_e32 v[18:19], v[16:17], v[14:15]
	s_delay_alu instid0(VALU_DEP_1) | instskip(NEXT) | instid1(VALU_DEP_1)
	v_fma_f64 v[10:11], -v[10:11], v[18:19], v[16:17]
	v_div_fmas_f64 v[10:11], v[10:11], v[14:15], v[18:19]
	s_delay_alu instid0(VALU_DEP_1) | instskip(SKIP_1) | instid1(VALU_DEP_2)
	v_div_fixup_f64 v[20:21], v[10:11], v[20:21], v[6:7]
	v_mul_f64_e32 v[6:7], v[12:13], v[12:13]
	v_mul_f64_e32 v[28:29], v[20:21], v[20:21]
	s_delay_alu instid0(VALU_DEP_2) | instskip(NEXT) | instid1(VALU_DEP_2)
	v_fmac_f64_e32 v[6:7], v[8:9], v[0:1]
	v_div_scale_f64 v[10:11], null, v[0:1], v[0:1], v[28:29]
	s_delay_alu instid0(VALU_DEP_1) | instskip(SKIP_1) | instid1(TRANS32_DEP_1)
	v_rcp_f64_e32 v[14:15], v[10:11]
	v_nop
	v_fma_f64 v[16:17], -v[10:11], v[14:15], 1.0
	s_delay_alu instid0(VALU_DEP_1) | instskip(NEXT) | instid1(VALU_DEP_1)
	v_fmac_f64_e32 v[14:15], v[14:15], v[16:17]
	v_fma_f64 v[16:17], -v[10:11], v[14:15], 1.0
	s_delay_alu instid0(VALU_DEP_1) | instskip(SKIP_1) | instid1(VALU_DEP_1)
	v_fmac_f64_e32 v[14:15], v[14:15], v[16:17]
	v_div_scale_f64 v[16:17], vcc_lo, v[28:29], v[0:1], v[28:29]
	v_mul_f64_e32 v[18:19], v[16:17], v[14:15]
	s_delay_alu instid0(VALU_DEP_1) | instskip(NEXT) | instid1(VALU_DEP_1)
	v_fma_f64 v[10:11], -v[10:11], v[18:19], v[16:17]
	v_div_fmas_f64 v[10:11], v[10:11], v[14:15], v[18:19]
	v_cmp_gt_f64_e32 vcc_lo, 0x10000000, v[4:5]
	s_delay_alu instid0(VALU_DEP_2) | instskip(SKIP_3) | instid1(VALU_DEP_2)
	v_div_fixup_f64 v[0:1], v[10:11], v[0:1], v[28:29]
	s_and_b32 s0, vcc_lo, exec_lo
	s_cselect_b32 s0, 0x100, 0
	v_mul_f64_e32 v[10:11], v[4:5], v[4:5]
	v_add_f64_e32 v[0:1], v[6:7], v[0:1]
	s_clause 0x2
	scratch_store_b64 off, v[12:13], off
	scratch_store_b64 off, v[114:115], off offset:152
	scratch_store_b64 off, v[0:1], off offset:16
	s_wait_xcnt 0x0
	v_lshl_add_u32 v0, v79, 10, v78
	s_delay_alu instid0(VALU_DEP_1)
	v_lshl_add_u32 v0, v0, 1, v0
	s_wait_kmcnt 0x0
	global_store_b64 v0, v[34:35], s[10:11] scale_offset
	scratch_store_b32 off, v0, off offset:232 ; 4-byte Folded Spill
	s_wait_xcnt 0x0
	v_add_nc_u32_e32 v0, 1, v0
	global_store_b64 v0, v[32:33], s[10:11] scale_offset
	scratch_store_b64 off, v[20:21], off offset:40 ; 8-byte Folded Spill
	s_wait_xcnt 0x1
	v_mul_f64_e32 v[0:1], v[2:3], v[20:21]
	s_clause 0x1
	scratch_store_b64 off, v[4:5], off offset:200
	scratch_store_b64 off, v[0:1], off offset:24
	s_wait_xcnt 0x0
	v_ldexp_f64 v[0:1], v[4:5], s0
	s_cselect_b32 s0, 0xffffff80, 0
	s_delay_alu instid0(VALU_DEP_1) | instskip(SKIP_1) | instid1(TRANS32_DEP_1)
	v_rsq_f64_e32 v[6:7], v[0:1]
	v_cmp_class_f64_e64 vcc_lo, v[0:1], 0x260
	v_mul_f64_e32 v[14:15], v[0:1], v[6:7]
	v_mul_f64_e32 v[6:7], 0.5, v[6:7]
	s_delay_alu instid0(VALU_DEP_1) | instskip(NEXT) | instid1(VALU_DEP_1)
	v_fma_f64 v[16:17], -v[6:7], v[14:15], 0.5
	v_fmac_f64_e32 v[14:15], v[14:15], v[16:17]
	v_fmac_f64_e32 v[6:7], v[6:7], v[16:17]
	s_delay_alu instid0(VALU_DEP_2) | instskip(NEXT) | instid1(VALU_DEP_1)
	v_fma_f64 v[18:19], -v[14:15], v[14:15], v[0:1]
	v_fmac_f64_e32 v[14:15], v[18:19], v[6:7]
	s_delay_alu instid0(VALU_DEP_1) | instskip(NEXT) | instid1(VALU_DEP_1)
	v_fma_f64 v[16:17], -v[14:15], v[14:15], v[0:1]
	v_fmac_f64_e32 v[14:15], v[16:17], v[6:7]
	s_delay_alu instid0(VALU_DEP_1) | instskip(NEXT) | instid1(VALU_DEP_1)
	v_ldexp_f64 v[6:7], v[14:15], s0
	v_dual_cndmask_b32 v7, v7, v1 :: v_dual_cndmask_b32 v6, v6, v0
	s_delay_alu instid0(VALU_DEP_1) | instskip(SKIP_1) | instid1(VALU_DEP_2)
	v_fma_f64 v[0:1], -v[2:3], v[6:7], v[10:11]
	v_mul_f64_e32 v[10:11], v[10:11], v[4:5]
	v_add_f64_e32 v[0:1], v[8:9], v[0:1]
	s_delay_alu instid0(VALU_DEP_2) | instskip(SKIP_2) | instid1(SALU_CYCLE_1)
	v_cmp_gt_f64_e32 vcc_lo, 0x10000000, v[10:11]
	s_and_b32 s0, vcc_lo, exec_lo
	s_cselect_b32 s0, 0x100, 0
	v_ldexp_f64 v[14:15], v[10:11], s0
	s_cselect_b32 s0, 0xffffff80, 0
	s_delay_alu instid0(VALU_DEP_1) | instskip(SKIP_1) | instid1(TRANS32_DEP_1)
	v_rsq_f64_e32 v[10:11], v[14:15]
	v_cmp_class_f64_e64 vcc_lo, v[14:15], 0x260
	v_mul_f64_e32 v[16:17], v[14:15], v[10:11]
	v_mul_f64_e32 v[10:11], 0.5, v[10:11]
	s_delay_alu instid0(VALU_DEP_1) | instskip(NEXT) | instid1(VALU_DEP_1)
	v_fma_f64 v[18:19], -v[10:11], v[16:17], 0.5
	v_fmac_f64_e32 v[16:17], v[16:17], v[18:19]
	v_fmac_f64_e32 v[10:11], v[10:11], v[18:19]
	s_delay_alu instid0(VALU_DEP_2) | instskip(NEXT) | instid1(VALU_DEP_1)
	v_fma_f64 v[20:21], -v[16:17], v[16:17], v[14:15]
	v_fmac_f64_e32 v[16:17], v[20:21], v[10:11]
	s_delay_alu instid0(VALU_DEP_1) | instskip(NEXT) | instid1(VALU_DEP_1)
	v_fma_f64 v[18:19], -v[16:17], v[16:17], v[14:15]
	v_fmac_f64_e32 v[16:17], v[18:19], v[10:11]
	s_delay_alu instid0(VALU_DEP_1) | instskip(NEXT) | instid1(VALU_DEP_1)
	v_ldexp_f64 v[10:11], v[16:17], s0
	v_dual_cndmask_b32 v11, v11, v15 :: v_dual_cndmask_b32 v10, v10, v14
	s_delay_alu instid0(VALU_DEP_1) | instskip(NEXT) | instid1(VALU_DEP_1)
	v_fmac_f64_e32 v[10:11], -2.0, v[6:7]
	v_add_f64_e32 v[6:7], s[8:9], v[10:11]
	s_delay_alu instid0(VALU_DEP_1) | instskip(NEXT) | instid1(VALU_DEP_1)
	v_div_scale_f64 v[10:11], null, v[6:7], v[6:7], v[0:1]
	v_rcp_f64_e32 v[14:15], v[10:11]
	v_nop
	s_delay_alu instid0(TRANS32_DEP_1) | instskip(NEXT) | instid1(VALU_DEP_1)
	v_fma_f64 v[16:17], -v[10:11], v[14:15], 1.0
	v_fmac_f64_e32 v[14:15], v[14:15], v[16:17]
	s_delay_alu instid0(VALU_DEP_1) | instskip(NEXT) | instid1(VALU_DEP_1)
	v_fma_f64 v[16:17], -v[10:11], v[14:15], 1.0
	v_fmac_f64_e32 v[14:15], v[14:15], v[16:17]
	v_div_scale_f64 v[16:17], vcc_lo, v[0:1], v[6:7], v[0:1]
	s_delay_alu instid0(VALU_DEP_1) | instskip(NEXT) | instid1(VALU_DEP_1)
	v_mul_f64_e32 v[18:19], v[16:17], v[14:15]
	v_fma_f64 v[10:11], -v[10:11], v[18:19], v[16:17]
	s_delay_alu instid0(VALU_DEP_1) | instskip(NEXT) | instid1(VALU_DEP_1)
	v_div_fmas_f64 v[10:11], v[10:11], v[14:15], v[18:19]
	v_div_fixup_f64 v[0:1], v[10:11], v[6:7], v[0:1]
	scratch_store_b64 off, v[0:1], off offset:208 ; 8-byte Folded Spill
	s_wait_xcnt 0x0
	v_div_scale_f64 v[0:1], null, v[4:5], v[4:5], s[14:15]
	s_delay_alu instid0(VALU_DEP_1) | instskip(SKIP_1) | instid1(TRANS32_DEP_1)
	v_rcp_f64_e32 v[6:7], v[0:1]
	v_nop
	v_fma_f64 v[10:11], -v[0:1], v[6:7], 1.0
	s_delay_alu instid0(VALU_DEP_1) | instskip(NEXT) | instid1(VALU_DEP_1)
	v_fmac_f64_e32 v[6:7], v[6:7], v[10:11]
	v_fma_f64 v[10:11], -v[0:1], v[6:7], 1.0
	s_delay_alu instid0(VALU_DEP_1) | instskip(SKIP_1) | instid1(VALU_DEP_1)
	v_fmac_f64_e32 v[6:7], v[6:7], v[10:11]
	v_div_scale_f64 v[10:11], vcc_lo, s[14:15], v[4:5], s[14:15]
	v_mul_f64_e32 v[14:15], v[10:11], v[6:7]
	s_delay_alu instid0(VALU_DEP_1) | instskip(NEXT) | instid1(VALU_DEP_1)
	v_fma_f64 v[0:1], -v[0:1], v[14:15], v[10:11]
	v_div_fmas_f64 v[0:1], v[0:1], v[6:7], v[14:15]
	s_delay_alu instid0(VALU_DEP_1) | instskip(NEXT) | instid1(VALU_DEP_1)
	v_div_fixup_f64 v[0:1], v[0:1], v[4:5], s[14:15]
	v_add_f64_e64 v[6:7], -v[0:1], 1.0
	s_delay_alu instid0(VALU_DEP_1) | instskip(SKIP_2) | instid1(SALU_CYCLE_1)
	v_cmp_gt_f64_e32 vcc_lo, 0x10000000, v[6:7]
	s_and_b32 s0, vcc_lo, exec_lo
	s_cselect_b32 s0, 0x100, 0
	v_ldexp_f64 v[6:7], v[6:7], s0
	s_cselect_b32 s0, 0xffffff80, 0
	s_delay_alu instid0(VALU_DEP_1) | instskip(SKIP_1) | instid1(TRANS32_DEP_1)
	v_rsq_f64_e32 v[10:11], v[6:7]
	v_cmp_class_f64_e64 vcc_lo, v[6:7], 0x260
	v_mul_f64_e32 v[14:15], v[6:7], v[10:11]
	v_mul_f64_e32 v[10:11], 0.5, v[10:11]
	s_delay_alu instid0(VALU_DEP_1) | instskip(NEXT) | instid1(VALU_DEP_1)
	v_fma_f64 v[16:17], -v[10:11], v[14:15], 0.5
	v_fmac_f64_e32 v[14:15], v[14:15], v[16:17]
	v_fmac_f64_e32 v[10:11], v[10:11], v[16:17]
	s_delay_alu instid0(VALU_DEP_2) | instskip(NEXT) | instid1(VALU_DEP_1)
	v_fma_f64 v[18:19], -v[14:15], v[14:15], v[6:7]
	v_fmac_f64_e32 v[14:15], v[18:19], v[10:11]
	s_delay_alu instid0(VALU_DEP_1) | instskip(NEXT) | instid1(VALU_DEP_1)
	v_fma_f64 v[16:17], -v[14:15], v[14:15], v[6:7]
	v_fmac_f64_e32 v[14:15], v[16:17], v[10:11]
	s_delay_alu instid0(VALU_DEP_1) | instskip(NEXT) | instid1(VALU_DEP_1)
	v_ldexp_f64 v[10:11], v[14:15], s0
	v_dual_cndmask_b32 v3, v11, v7 :: v_dual_cndmask_b32 v2, v10, v6
	v_cmp_gt_f64_e32 vcc_lo, 0x10000000, v[0:1]
	s_and_b32 s0, vcc_lo, exec_lo
	s_cselect_b32 s0, 0x100, 0
	s_delay_alu instid0(SALU_CYCLE_1) | instskip(SKIP_1) | instid1(VALU_DEP_1)
	v_ldexp_f64 v[0:1], v[0:1], s0
	s_cselect_b32 s0, 0xffffff80, 0
	v_rsq_f64_e32 v[6:7], v[0:1]
	v_cmp_class_f64_e64 vcc_lo, v[0:1], 0x260
	s_delay_alu instid0(TRANS32_DEP_1) | instskip(SKIP_1) | instid1(VALU_DEP_1)
	v_mul_f64_e32 v[10:11], v[0:1], v[6:7]
	v_mul_f64_e32 v[6:7], 0.5, v[6:7]
	v_fma_f64 v[14:15], -v[6:7], v[10:11], 0.5
	s_delay_alu instid0(VALU_DEP_1) | instskip(SKIP_1) | instid1(VALU_DEP_2)
	v_fmac_f64_e32 v[10:11], v[10:11], v[14:15]
	v_fmac_f64_e32 v[6:7], v[6:7], v[14:15]
	v_fma_f64 v[16:17], -v[10:11], v[10:11], v[0:1]
	s_delay_alu instid0(VALU_DEP_1) | instskip(NEXT) | instid1(VALU_DEP_1)
	v_fmac_f64_e32 v[10:11], v[16:17], v[6:7]
	v_fma_f64 v[14:15], -v[10:11], v[10:11], v[0:1]
	s_delay_alu instid0(VALU_DEP_1) | instskip(NEXT) | instid1(VALU_DEP_1)
	v_fmac_f64_e32 v[10:11], v[14:15], v[6:7]
	v_ldexp_f64 v[6:7], v[10:11], s0
	s_delay_alu instid0(VALU_DEP_1)
	v_dual_cndmask_b32 v1, v7, v1 :: v_dual_cndmask_b32 v0, v6, v0
	scratch_store_b64 off, v[0:1], off offset:224 ; 8-byte Folded Spill
                                        ; implicit-def: $vgpr0_vgpr1
                                        ; implicit-def: $vgpr0_vgpr1
	;; [unrolled: 1-line block ×5, first 2 shown]
	s_wait_xcnt 0x0
	v_mov_b64_e32 v[0:1], 0
	scratch_store_b64 off, v[0:1], off offset:184 ; 8-byte Folded Spill
	s_wait_xcnt 0x0
	v_mov_b64_e32 v[0:1], 0
	s_clause 0x1
	scratch_store_b64 off, v[2:3], off offset:216
	scratch_store_b64 off, v[0:1], off offset:160
	s_branch .LBB1_79
.LBB1_77:                               ;   in Loop: Header=BB1_79 Depth=1
	s_or_b32 exec_lo, exec_lo, s4
	v_mul_f64_e32 v[2:3], v[48:49], v[48:49]
	v_cmp_class_f64_e64 s4, v[92:93], 0x1f8
	v_mov_b64_e32 v[30:31], 0x3e21eeb69037ab78
	v_mov_b64_e32 v[72:73], 0xbe5ae600b42fdfa7
	;; [unrolled: 1-line block ×3, first 2 shown]
	v_mov_b32_e32 v26, 0x3ff00000
	v_mul_f64_e32 v[4:5], 0.5, v[2:3]
	v_fmamk_f64 v[18:19], v[2:3], 0xbda907db46cc5e42, v[30:31]
	s_delay_alu instid0(VALU_DEP_1) | instskip(NEXT) | instid1(VALU_DEP_1)
	v_fmaak_f64 v[18:19], v[2:3], v[18:19], 0xbe927e4fa17f65f6
	v_fmaak_f64 v[18:19], v[2:3], v[18:19], 0x3efa01a019f4ec90
	s_delay_alu instid0(VALU_DEP_1) | instskip(NEXT) | instid1(VALU_DEP_1)
	v_fmaak_f64 v[18:19], v[2:3], v[18:19], 0xbf56c16c16c16967
	v_fmaak_f64 v[18:19], v[2:3], v[18:19], 0x3fa5555555555555
	v_add_f64_e64 v[12:13], -v[4:5], 1.0
	s_delay_alu instid0(VALU_DEP_1) | instskip(NEXT) | instid1(VALU_DEP_1)
	v_add_f64_e64 v[16:17], -v[12:13], 1.0
	v_add_f64_e64 v[4:5], v[16:17], -v[4:5]
	v_mul_f64_e32 v[16:17], v[2:3], v[2:3]
	s_delay_alu instid0(VALU_DEP_2) | instskip(NEXT) | instid1(VALU_DEP_1)
	v_fma_f64 v[4:5], v[48:49], -v[68:69], v[4:5]
	v_fmac_f64_e32 v[4:5], v[16:17], v[18:19]
	v_mul_f64_e32 v[18:19], 0.5, v[68:69]
	s_delay_alu instid0(VALU_DEP_2) | instskip(SKIP_2) | instid1(VALU_DEP_1)
	v_add_f64_e32 v[4:5], v[12:13], v[4:5]
	v_mul_f64_e64 v[16:17], v[48:49], -v[2:3]
	v_fmamk_f64 v[12:13], v[2:3], 0x3de5e0b2f9a43bb8, v[72:73]
	v_fmaak_f64 v[12:13], v[2:3], v[12:13], 0x3ec71de3796cde01
	s_delay_alu instid0(VALU_DEP_1) | instskip(NEXT) | instid1(VALU_DEP_1)
	v_fmaak_f64 v[12:13], v[2:3], v[12:13], 0xbf2a01a019e83e5c
	v_fmaak_f64 v[12:13], v[2:3], v[12:13], 0x3f81111111110bb3
	s_delay_alu instid0(VALU_DEP_1) | instskip(SKIP_1) | instid1(VALU_DEP_1)
	v_fmac_f64_e32 v[18:19], v[16:17], v[12:13]
	v_and_b32_e32 v12, 1, v32
	v_cmp_eq_u32_e32 vcc_lo, 0, v12
	s_delay_alu instid0(VALU_DEP_3) | instskip(NEXT) | instid1(VALU_DEP_1)
	v_fma_f64 v[2:3], v[2:3], v[18:19], -v[68:69]
	v_fmac_f64_e32 v[2:3], 0xbfc5555555555555, v[16:17]
	s_delay_alu instid0(VALU_DEP_1) | instskip(NEXT) | instid1(VALU_DEP_1)
	v_add_f64_e64 v[2:3], v[48:49], -v[2:3]
	v_xor_b32_e32 v3, 0x80000000, v3
	s_delay_alu instid0(VALU_DEP_2) | instskip(NEXT) | instid1(VALU_DEP_2)
	v_cndmask_b32_e32 v2, v2, v4, vcc_lo
	v_dual_cndmask_b32 v3, v3, v5 :: v_dual_lshlrev_b32 v4, 30, v32
	s_delay_alu instid0(VALU_DEP_2) | instskip(NEXT) | instid1(VALU_DEP_2)
	v_cndmask_b32_e64 v2, 0, v2, s4
	v_bitop3_b32 v3, v3, v4, 0x80000000 bitop3:0x78
	s_delay_alu instid0(VALU_DEP_1) | instskip(NEXT) | instid1(VALU_DEP_1)
	v_cndmask_b32_e64 v3, 0x7ff80000, v3, s4
	v_mul_f64_e32 v[16:17], v[74:75], v[2:3]
	v_and_b32_e32 v2, 1, v70
	s_delay_alu instid0(VALU_DEP_1) | instskip(SKIP_1) | instid1(VALU_DEP_1)
	v_cmp_eq_u32_e32 vcc_lo, 0, v2
	v_mul_f64_e32 v[2:3], v[6:7], v[6:7]
	v_mul_f64_e32 v[4:5], 0.5, v[2:3]
	v_fmamk_f64 v[22:23], v[2:3], 0xbda907db46cc5e42, v[30:31]
	v_mul_f64_e32 v[18:19], v[2:3], v[2:3]
	s_delay_alu instid0(VALU_DEP_2) | instskip(NEXT) | instid1(VALU_DEP_1)
	v_fmaak_f64 v[22:23], v[2:3], v[22:23], 0xbe927e4fa17f65f6
	v_fmaak_f64 v[22:23], v[2:3], v[22:23], 0x3efa01a019f4ec90
	s_delay_alu instid0(VALU_DEP_1) | instskip(NEXT) | instid1(VALU_DEP_1)
	v_fmaak_f64 v[22:23], v[2:3], v[22:23], 0xbf56c16c16c16967
	v_fmaak_f64 v[22:23], v[2:3], v[22:23], 0x3fa5555555555555
	v_add_f64_e64 v[12:13], -v[4:5], 1.0
	s_delay_alu instid0(VALU_DEP_1) | instskip(NEXT) | instid1(VALU_DEP_1)
	v_add_f64_e64 v[24:25], -v[12:13], 1.0
	v_add_f64_e64 v[4:5], v[24:25], -v[4:5]
	s_delay_alu instid0(VALU_DEP_1) | instskip(NEXT) | instid1(VALU_DEP_1)
	v_fma_f64 v[4:5], v[6:7], -v[14:15], v[4:5]
	v_fmac_f64_e32 v[4:5], v[18:19], v[22:23]
	v_mul_f64_e32 v[22:23], 0.5, v[14:15]
	v_fmamk_f64 v[18:19], v[2:3], 0x3de5e0b2f9a43bb8, v[72:73]
	s_delay_alu instid0(VALU_DEP_1) | instskip(NEXT) | instid1(VALU_DEP_1)
	v_fmaak_f64 v[18:19], v[2:3], v[18:19], 0x3ec71de3796cde01
	v_fmaak_f64 v[18:19], v[2:3], v[18:19], 0xbf2a01a019e83e5c
	s_delay_alu instid0(VALU_DEP_1) | instskip(SKIP_2) | instid1(VALU_DEP_1)
	v_fmaak_f64 v[18:19], v[2:3], v[18:19], 0x3f81111111110bb3
	v_add_f64_e32 v[4:5], v[12:13], v[4:5]
	v_mul_f64_e64 v[12:13], v[6:7], -v[2:3]
	v_fmac_f64_e32 v[22:23], v[12:13], v[18:19]
	s_delay_alu instid0(VALU_DEP_1) | instskip(SKIP_1) | instid1(VALU_DEP_2)
	v_fma_f64 v[2:3], v[2:3], v[22:23], -v[14:15]
	v_mul_f64_e32 v[14:15], 0.5, v[52:53]
	v_fmac_f64_e32 v[2:3], 0xbfc5555555555555, v[12:13]
	s_delay_alu instid0(VALU_DEP_1) | instskip(NEXT) | instid1(VALU_DEP_1)
	v_add_f64_e64 v[2:3], v[6:7], -v[2:3]
	v_xor_b32_e32 v3, 0x80000000, v3
	s_delay_alu instid0(VALU_DEP_2) | instskip(NEXT) | instid1(VALU_DEP_1)
	v_dual_cndmask_b32 v2, v2, v4, vcc_lo :: v_dual_lshlrev_b32 v4, 30, v70
	v_dual_cndmask_b32 v3, v3, v5, vcc_lo :: v_dual_cndmask_b32 v6, 0, v2, s4
	v_and_b32_e32 v2, 1, v10
	s_delay_alu instid0(VALU_DEP_2) | instskip(NEXT) | instid1(VALU_DEP_2)
	v_bitop3_b32 v3, v3, v4, 0x80000000 bitop3:0x78
	v_cmp_eq_u32_e32 vcc_lo, 0, v2
	s_delay_alu instid0(VALU_DEP_2) | instskip(SKIP_1) | instid1(VALU_DEP_1)
	v_cndmask_b32_e64 v7, 0x7ff80000, v3, s4
	v_mul_f64_e32 v[2:3], v[42:43], v[42:43]
	v_mul_f64_e64 v[4:5], v[42:43], -v[2:3]
	v_fmamk_f64 v[12:13], v[2:3], 0x3de5e0b2f9a43bb8, v[72:73]
	v_mul_f64_e32 v[32:33], v[2:3], v[2:3]
	s_delay_alu instid0(VALU_DEP_2) | instskip(NEXT) | instid1(VALU_DEP_1)
	v_fmaak_f64 v[12:13], v[2:3], v[12:13], 0x3ec71de3796cde01
	v_fmaak_f64 v[12:13], v[2:3], v[12:13], 0xbf2a01a019e83e5c
	s_delay_alu instid0(VALU_DEP_1) | instskip(NEXT) | instid1(VALU_DEP_1)
	v_fmaak_f64 v[12:13], v[2:3], v[12:13], 0x3f81111111110bb3
	v_fmac_f64_e32 v[14:15], v[4:5], v[12:13]
	s_delay_alu instid0(VALU_DEP_1) | instskip(NEXT) | instid1(VALU_DEP_1)
	v_fma_f64 v[12:13], v[2:3], v[14:15], -v[52:53]
	v_fmac_f64_e32 v[12:13], 0xbfc5555555555555, v[4:5]
	v_mul_f64_e32 v[4:5], 0.5, v[2:3]
	s_delay_alu instid0(VALU_DEP_2) | instskip(NEXT) | instid1(VALU_DEP_2)
	v_add_f64_e64 v[14:15], v[42:43], -v[12:13]
	v_add_f64_e64 v[18:19], -v[4:5], 1.0
	v_fmamk_f64 v[12:13], v[2:3], 0xbda907db46cc5e42, v[30:31]
	s_delay_alu instid0(VALU_DEP_1) | instskip(NEXT) | instid1(VALU_DEP_1)
	v_fmaak_f64 v[12:13], v[2:3], v[12:13], 0xbe927e4fa17f65f6
	v_fmaak_f64 v[12:13], v[2:3], v[12:13], 0x3efa01a019f4ec90
	s_delay_alu instid0(VALU_DEP_1) | instskip(NEXT) | instid1(VALU_DEP_1)
	v_fmaak_f64 v[12:13], v[2:3], v[12:13], 0xbf56c16c16c16967
	v_fmaak_f64 v[44:45], v[2:3], v[12:13], 0x3fa5555555555555
	v_mul_f64_e32 v[12:13], v[8:9], v[54:55]
	v_add_f64_e64 v[2:3], -v[18:19], 1.0
	s_delay_alu instid0(VALU_DEP_1) | instskip(NEXT) | instid1(VALU_DEP_1)
	v_dual_add_f64 v[2:3], v[2:3], -v[4:5] :: v_dual_lshlrev_b32 v4, 30, v10
	v_xor_b32_e32 v4, v4, v93
	s_delay_alu instid0(VALU_DEP_2) | instskip(NEXT) | instid1(VALU_DEP_1)
	v_fma_f64 v[2:3], v[42:43], -v[52:53], v[2:3]
	v_fmac_f64_e32 v[2:3], v[32:33], v[44:45]
	v_mov_b64_e32 v[44:45], 0x3e928af3fca7ab0c
	s_delay_alu instid0(VALU_DEP_2) | instskip(NEXT) | instid1(VALU_DEP_1)
	v_add_f64_e32 v[2:3], v[18:19], v[2:3]
	v_cndmask_b32_e32 v2, v2, v14, vcc_lo
	s_delay_alu instid0(VALU_DEP_1) | instskip(NEXT) | instid1(VALU_DEP_1)
	v_dual_cndmask_b32 v2, 0, v2, s4 :: v_dual_cndmask_b32 v3, v3, v15, vcc_lo
	v_bitop3_b32 v3, v3, v4, 0x80000000 bitop3:0x78
	v_add_f64_e32 v[4:5], v[8:9], v[36:37]
	s_delay_alu instid0(VALU_DEP_2) | instskip(NEXT) | instid1(VALU_DEP_1)
	v_cndmask_b32_e64 v3, 0x7ff80000, v3, s4
	v_mul_f64_e32 v[18:19], v[2:3], v[2:3]
	s_delay_alu instid0(VALU_DEP_1) | instskip(NEXT) | instid1(VALU_DEP_1)
	v_mul_f64_e32 v[2:3], v[18:19], v[12:13]
	v_fma_f64 v[2:3], v[4:5], v[4:5], -v[2:3]
	v_mul_f64_e32 v[4:5], v[6:7], v[6:7]
	s_delay_alu instid0(VALU_DEP_2) | instskip(NEXT) | instid1(VALU_DEP_2)
	v_mul_f64_e32 v[2:3], v[18:19], v[2:3]
	v_fmac_f64_e32 v[36:37], v[8:9], v[4:5]
	s_delay_alu instid0(VALU_DEP_1) | instskip(NEXT) | instid1(VALU_DEP_1)
	v_div_scale_f64 v[4:5], null, v[36:37], v[36:37], v[2:3]
	v_rcp_f64_e32 v[6:7], v[4:5]
	v_nop
	s_delay_alu instid0(TRANS32_DEP_1) | instskip(NEXT) | instid1(VALU_DEP_1)
	v_fma_f64 v[12:13], -v[4:5], v[6:7], 1.0
	v_fmac_f64_e32 v[6:7], v[6:7], v[12:13]
	s_delay_alu instid0(VALU_DEP_1) | instskip(NEXT) | instid1(VALU_DEP_1)
	v_fma_f64 v[12:13], -v[4:5], v[6:7], 1.0
	v_fmac_f64_e32 v[6:7], v[6:7], v[12:13]
	v_div_scale_f64 v[12:13], vcc_lo, v[2:3], v[36:37], v[2:3]
	s_delay_alu instid0(VALU_DEP_1) | instskip(NEXT) | instid1(VALU_DEP_1)
	v_mul_f64_e32 v[14:15], v[12:13], v[6:7]
	v_fma_f64 v[4:5], -v[4:5], v[14:15], v[12:13]
	s_delay_alu instid0(VALU_DEP_1) | instskip(NEXT) | instid1(VALU_DEP_1)
	v_div_fmas_f64 v[4:5], v[4:5], v[6:7], v[14:15]
	v_div_fixup_f64 v[6:7], v[4:5], v[36:37], v[2:3]
	v_div_scale_f64 v[2:3], null, v[54:55], v[54:55], v[36:37]
	s_delay_alu instid0(VALU_DEP_1) | instskip(SKIP_1) | instid1(TRANS32_DEP_1)
	v_rcp_f64_e32 v[4:5], v[2:3]
	v_nop
	v_fma_f64 v[12:13], -v[2:3], v[4:5], 1.0
	s_delay_alu instid0(VALU_DEP_1) | instskip(NEXT) | instid1(VALU_DEP_1)
	v_fmac_f64_e32 v[4:5], v[4:5], v[12:13]
	v_fma_f64 v[12:13], -v[2:3], v[4:5], 1.0
	s_delay_alu instid0(VALU_DEP_1) | instskip(SKIP_1) | instid1(VALU_DEP_1)
	v_fmac_f64_e32 v[4:5], v[4:5], v[12:13]
	v_div_scale_f64 v[12:13], vcc_lo, v[36:37], v[54:55], v[36:37]
	v_mul_f64_e32 v[14:15], v[12:13], v[4:5]
	s_delay_alu instid0(VALU_DEP_1) | instskip(NEXT) | instid1(VALU_DEP_1)
	v_fma_f64 v[2:3], -v[2:3], v[14:15], v[12:13]
	v_div_fmas_f64 v[2:3], v[2:3], v[4:5], v[14:15]
	s_delay_alu instid0(VALU_DEP_1) | instskip(SKIP_3) | instid1(VALU_DEP_1)
	v_div_fixup_f64 v[14:15], v[2:3], v[54:55], v[36:37]
	scratch_load_b64 v[2:3], off, off offset:192 ; 8-byte Folded Reload
	s_wait_loadcnt 0x0
	v_mul_f64_e32 v[2:3], v[2:3], v[74:75]
	v_mul_f64_e32 v[2:3], v[2:3], v[18:19]
	s_delay_alu instid0(VALU_DEP_1) | instskip(NEXT) | instid1(VALU_DEP_1)
	v_div_scale_f64 v[4:5], null, v[36:37], v[36:37], v[2:3]
	v_rcp_f64_e32 v[12:13], v[4:5]
	v_nop
	s_delay_alu instid0(TRANS32_DEP_1) | instskip(NEXT) | instid1(VALU_DEP_1)
	v_fma_f64 v[18:19], -v[4:5], v[12:13], 1.0
	v_fmac_f64_e32 v[12:13], v[12:13], v[18:19]
	s_delay_alu instid0(VALU_DEP_1) | instskip(NEXT) | instid1(VALU_DEP_1)
	v_fma_f64 v[18:19], -v[4:5], v[12:13], 1.0
	v_fmac_f64_e32 v[12:13], v[12:13], v[18:19]
	v_div_scale_f64 v[18:19], vcc_lo, v[2:3], v[36:37], v[2:3]
	s_delay_alu instid0(VALU_DEP_1) | instskip(NEXT) | instid1(VALU_DEP_1)
	v_mul_f64_e32 v[22:23], v[18:19], v[12:13]
	v_fma_f64 v[4:5], -v[4:5], v[22:23], v[18:19]
	s_delay_alu instid0(VALU_DEP_1) | instskip(NEXT) | instid1(VALU_DEP_1)
	v_div_fmas_f64 v[4:5], v[4:5], v[12:13], v[22:23]
	v_div_fixup_f64 v[18:19], v[4:5], v[36:37], v[2:3]
	v_div_scale_f64 v[2:3], null, v[36:37], v[36:37], v[34:35]
	s_delay_alu instid0(VALU_DEP_1) | instskip(SKIP_1) | instid1(TRANS32_DEP_1)
	v_rcp_f64_e32 v[4:5], v[2:3]
	v_nop
	v_fma_f64 v[12:13], -v[2:3], v[4:5], 1.0
	s_delay_alu instid0(VALU_DEP_1) | instskip(NEXT) | instid1(VALU_DEP_1)
	v_fmac_f64_e32 v[4:5], v[4:5], v[12:13]
	v_fma_f64 v[12:13], -v[2:3], v[4:5], 1.0
	s_delay_alu instid0(VALU_DEP_1) | instskip(SKIP_1) | instid1(VALU_DEP_1)
	v_fmac_f64_e32 v[4:5], v[4:5], v[12:13]
	v_div_scale_f64 v[12:13], vcc_lo, v[34:35], v[36:37], v[34:35]
	v_mul_f64_e32 v[22:23], v[12:13], v[4:5]
	s_delay_alu instid0(VALU_DEP_1) | instskip(NEXT) | instid1(VALU_DEP_1)
	v_fma_f64 v[2:3], -v[2:3], v[22:23], v[12:13]
	v_div_fmas_f64 v[2:3], v[2:3], v[4:5], v[22:23]
	s_delay_alu instid0(VALU_DEP_1) | instskip(NEXT) | instid1(VALU_DEP_1)
	v_div_fixup_f64 v[2:3], v[2:3], v[36:37], v[34:35]
	v_add_f64_e64 v[32:33], -v[2:3], 1.0
	v_div_scale_f64 v[2:3], null, v[64:65], v[64:65], v[66:67]
	s_delay_alu instid0(VALU_DEP_1) | instskip(SKIP_1) | instid1(TRANS32_DEP_1)
	v_rcp_f64_e32 v[4:5], v[2:3]
	v_nop
	v_fma_f64 v[12:13], -v[2:3], v[4:5], 1.0
	s_delay_alu instid0(VALU_DEP_1) | instskip(NEXT) | instid1(VALU_DEP_1)
	v_fmac_f64_e32 v[4:5], v[4:5], v[12:13]
	v_fma_f64 v[12:13], -v[2:3], v[4:5], 1.0
	s_delay_alu instid0(VALU_DEP_1) | instskip(SKIP_1) | instid1(VALU_DEP_1)
	v_fmac_f64_e32 v[4:5], v[4:5], v[12:13]
	v_div_scale_f64 v[12:13], vcc_lo, v[66:67], v[64:65], v[66:67]
	v_mul_f64_e32 v[22:23], v[12:13], v[4:5]
	s_delay_alu instid0(VALU_DEP_1) | instskip(NEXT) | instid1(VALU_DEP_1)
	v_fma_f64 v[2:3], -v[2:3], v[22:23], v[12:13]
	v_div_fmas_f64 v[2:3], v[2:3], v[4:5], v[22:23]
	s_delay_alu instid0(VALU_DEP_1) | instskip(NEXT) | instid1(VALU_DEP_1)
	v_div_fixup_f64 v[2:3], v[2:3], v[64:65], v[66:67]
	v_mul_f64_e32 v[4:5], v[2:3], v[2:3]
	s_delay_alu instid0(VALU_DEP_1) | instskip(SKIP_1) | instid1(VALU_DEP_1)
	v_fma_f64 v[4:5], v[6:7], v[4:5], -v[32:33]
	v_add_f64_e32 v[6:7], v[2:3], v[2:3]
	v_fma_f64 v[4:5], -v[18:19], v[6:7], v[4:5]
	v_mul_f64_e32 v[6:7], v[14:15], v[62:63]
	s_delay_alu instid0(VALU_DEP_1) | instskip(NEXT) | instid1(VALU_DEP_1)
	v_fma_f64 v[6:7], v[62:63], v[6:7], 1.0
	v_div_scale_f64 v[12:13], null, -v[4:5], -v[4:5], v[6:7]
	s_delay_alu instid0(VALU_DEP_1) | instskip(SKIP_1) | instid1(TRANS32_DEP_1)
	v_rcp_f64_e32 v[14:15], v[12:13]
	v_nop
	v_fma_f64 v[18:19], -v[12:13], v[14:15], 1.0
	s_delay_alu instid0(VALU_DEP_1) | instskip(NEXT) | instid1(VALU_DEP_1)
	v_fmac_f64_e32 v[14:15], v[14:15], v[18:19]
	v_fma_f64 v[18:19], -v[12:13], v[14:15], 1.0
	s_delay_alu instid0(VALU_DEP_1) | instskip(SKIP_1) | instid1(VALU_DEP_1)
	v_fmac_f64_e32 v[14:15], v[14:15], v[18:19]
	v_div_scale_f64 v[18:19], vcc_lo, v[6:7], -v[4:5], v[6:7]
	v_mul_f64_e32 v[22:23], v[18:19], v[14:15]
	s_delay_alu instid0(VALU_DEP_1) | instskip(NEXT) | instid1(VALU_DEP_1)
	v_fma_f64 v[12:13], -v[12:13], v[22:23], v[18:19]
	v_div_fmas_f64 v[12:13], v[12:13], v[14:15], v[22:23]
	s_delay_alu instid0(VALU_DEP_1) | instskip(NEXT) | instid1(VALU_DEP_1)
	v_div_fixup_f64 v[4:5], v[12:13], -v[4:5], v[6:7]
	v_cmp_gt_f64_e32 vcc_lo, 0x10000000, v[4:5]
	v_cndmask_b32_e64 v6, 0, 0x100, vcc_lo
	s_delay_alu instid0(VALU_DEP_1) | instskip(NEXT) | instid1(VALU_DEP_1)
	v_ldexp_f64 v[4:5], v[4:5], v6
	v_rsq_f64_e32 v[6:7], v[4:5]
	v_nop
	s_delay_alu instid0(TRANS32_DEP_1) | instskip(SKIP_1) | instid1(VALU_DEP_1)
	v_mul_f64_e32 v[12:13], v[4:5], v[6:7]
	v_mul_f64_e32 v[6:7], 0.5, v[6:7]
	v_fma_f64 v[14:15], -v[6:7], v[12:13], 0.5
	s_delay_alu instid0(VALU_DEP_1) | instskip(SKIP_1) | instid1(VALU_DEP_2)
	v_fmac_f64_e32 v[12:13], v[12:13], v[14:15]
	v_fmac_f64_e32 v[6:7], v[6:7], v[14:15]
	v_fma_f64 v[18:19], -v[12:13], v[12:13], v[4:5]
	s_delay_alu instid0(VALU_DEP_1) | instskip(NEXT) | instid1(VALU_DEP_1)
	v_fmac_f64_e32 v[12:13], v[18:19], v[6:7]
	v_fma_f64 v[14:15], -v[12:13], v[12:13], v[4:5]
	s_delay_alu instid0(VALU_DEP_1) | instskip(SKIP_3) | instid1(VALU_DEP_3)
	v_fmac_f64_e32 v[12:13], v[14:15], v[6:7]
	v_cndmask_b32_e64 v6, 0, 0xffffff80, vcc_lo
	v_cmp_class_f64_e64 vcc_lo, v[4:5], 0x260
	v_mul_f64_e32 v[14:15], v[38:39], v[38:39]
	v_ldexp_f64 v[6:7], v[12:13], v6
	s_delay_alu instid0(VALU_DEP_2) | instskip(SKIP_1) | instid1(VALU_DEP_2)
	v_fmamk_f64 v[12:13], v[14:15], 0xbda907db46cc5e42, v[30:31]
	v_mul_f64_e64 v[18:19], v[38:39], -v[14:15]
	v_fmaak_f64 v[12:13], v[14:15], v[12:13], 0xbe927e4fa17f65f6
	s_delay_alu instid0(VALU_DEP_1) | instskip(NEXT) | instid1(VALU_DEP_1)
	v_fmaak_f64 v[12:13], v[14:15], v[12:13], 0x3efa01a019f4ec90
	v_fmaak_f64 v[12:13], v[14:15], v[12:13], 0xbf56c16c16c16967
	s_delay_alu instid0(VALU_DEP_1) | instskip(SKIP_4) | instid1(VALU_DEP_1)
	v_fmaak_f64 v[12:13], v[14:15], v[12:13], 0x3fa5555555555555
	v_dual_cndmask_b32 v5, v7, v5 :: v_dual_cndmask_b32 v4, v6, v4
	scratch_load_b64 v[6:7], off, off offset:40 ; 8-byte Folded Reload
	v_mul_f64_e32 v[2:3], v[2:3], v[4:5]
	s_wait_loadcnt 0x0
	v_fma_f64 v[52:53], v[6:7], v[2:3], -v[4:5]
	v_mul_f64_e32 v[2:3], 0.5, v[14:15]
	s_delay_alu instid0(VALU_DEP_2) | instskip(NEXT) | instid1(VALU_DEP_2)
	v_fmac_f64_e32 v[52:53], v[126:127], v[62:63]
	v_add_f64_e64 v[4:5], -v[2:3], 1.0
	s_delay_alu instid0(VALU_DEP_1) | instskip(NEXT) | instid1(VALU_DEP_1)
	v_add_f64_e64 v[6:7], -v[4:5], 1.0
	v_add_f64_e64 v[2:3], v[6:7], -v[2:3]
	v_mul_f64_e32 v[6:7], v[14:15], v[14:15]
	s_delay_alu instid0(VALU_DEP_2) | instskip(NEXT) | instid1(VALU_DEP_1)
	v_fma_f64 v[2:3], v[38:39], -v[46:47], v[2:3]
	v_fmac_f64_e32 v[2:3], v[6:7], v[12:13]
	s_delay_alu instid0(VALU_DEP_1) | instskip(SKIP_2) | instid1(VALU_DEP_1)
	v_add_f64_e32 v[6:7], v[4:5], v[2:3]
	v_fmamk_f64 v[2:3], v[14:15], 0x3de5e0b2f9a43bb8, v[72:73]
	v_and_b32_e32 v4, 1, v11
	v_cmp_eq_u32_e32 vcc_lo, 0, v4
	s_delay_alu instid0(VALU_DEP_3) | instskip(SKIP_1) | instid1(VALU_DEP_1)
	v_fmaak_f64 v[2:3], v[14:15], v[2:3], 0x3ec71de3796cde01
	v_lshlrev_b32_e32 v4, 30, v11
	v_xor_b32_e32 v4, v4, v93
	s_delay_alu instid0(VALU_DEP_3) | instskip(NEXT) | instid1(VALU_DEP_1)
	v_fmaak_f64 v[2:3], v[14:15], v[2:3], 0xbf2a01a019e83e5c
	v_fmaak_f64 v[32:33], v[14:15], v[2:3], 0x3f81111111110bb3
	v_mul_f64_e32 v[2:3], 0.5, v[46:47]
	s_delay_alu instid0(VALU_DEP_1) | instskip(NEXT) | instid1(VALU_DEP_1)
	v_fmac_f64_e32 v[2:3], v[18:19], v[32:33]
	v_fma_f64 v[2:3], v[14:15], v[2:3], -v[46:47]
	s_delay_alu instid0(VALU_DEP_1) | instskip(NEXT) | instid1(VALU_DEP_1)
	v_fmac_f64_e32 v[2:3], 0xbfc5555555555555, v[18:19]
	v_add_f64_e64 v[2:3], v[38:39], -v[2:3]
	s_delay_alu instid0(VALU_DEP_1) | instskip(NEXT) | instid1(VALU_DEP_1)
	v_dual_cndmask_b32 v3, v7, v3 :: v_dual_cndmask_b32 v2, v6, v2
	v_bitop3_b32 v3, v3, v4, 0x80000000 bitop3:0x78
	s_delay_alu instid0(VALU_DEP_2) | instskip(NEXT) | instid1(VALU_DEP_2)
	v_cndmask_b32_e64 v2, 0, v2, s4
	v_cndmask_b32_e64 v3, 0x7ff80000, v3, s4
	s_delay_alu instid0(VALU_DEP_1) | instskip(SKIP_1) | instid1(VALU_DEP_1)
	v_mul_f64_e32 v[6:7], v[74:75], v[2:3]
	v_mul_f64_e64 v[2:3], v[16:17], -v[16:17]
	v_mul_f64_e32 v[2:3], 0.5, v[2:3]
	s_delay_alu instid0(VALU_DEP_1) | instskip(NEXT) | instid1(VALU_DEP_1)
	v_div_scale_f64 v[4:5], null, v[6:7], v[6:7], v[2:3]
	v_rcp_f64_e32 v[10:11], v[4:5]
	v_nop
	s_delay_alu instid0(TRANS32_DEP_1) | instskip(NEXT) | instid1(VALU_DEP_1)
	v_fma_f64 v[12:13], -v[4:5], v[10:11], 1.0
	v_fmac_f64_e32 v[10:11], v[10:11], v[12:13]
	s_delay_alu instid0(VALU_DEP_1) | instskip(NEXT) | instid1(VALU_DEP_1)
	v_fma_f64 v[12:13], -v[4:5], v[10:11], 1.0
	v_fmac_f64_e32 v[10:11], v[10:11], v[12:13]
	v_div_scale_f64 v[12:13], vcc_lo, v[2:3], v[6:7], v[2:3]
	s_delay_alu instid0(VALU_DEP_1) | instskip(NEXT) | instid1(VALU_DEP_1)
	v_mul_f64_e32 v[14:15], v[12:13], v[10:11]
	v_fma_f64 v[4:5], -v[4:5], v[14:15], v[12:13]
	s_delay_alu instid0(VALU_DEP_1) | instskip(NEXT) | instid1(VALU_DEP_1)
	v_div_fmas_f64 v[4:5], v[4:5], v[10:11], v[14:15]
	v_div_fixup_f64 v[2:3], v[4:5], v[6:7], v[2:3]
	s_delay_alu instid0(VALU_DEP_1) | instskip(NEXT) | instid1(VALU_DEP_1)
	v_div_scale_f64 v[4:5], null, v[6:7], v[6:7], v[2:3]
	v_rcp_f64_e32 v[10:11], v[4:5]
	v_nop
	s_delay_alu instid0(TRANS32_DEP_1) | instskip(NEXT) | instid1(VALU_DEP_1)
	v_fma_f64 v[12:13], -v[4:5], v[10:11], 1.0
	v_fmac_f64_e32 v[10:11], v[10:11], v[12:13]
	s_delay_alu instid0(VALU_DEP_1) | instskip(NEXT) | instid1(VALU_DEP_1)
	v_fma_f64 v[12:13], -v[4:5], v[10:11], 1.0
	v_fmac_f64_e32 v[10:11], v[10:11], v[12:13]
	v_div_scale_f64 v[12:13], vcc_lo, v[2:3], v[6:7], v[2:3]
	s_delay_alu instid0(VALU_DEP_1) | instskip(NEXT) | instid1(VALU_DEP_1)
	v_mul_f64_e32 v[14:15], v[12:13], v[10:11]
	v_fma_f64 v[4:5], -v[4:5], v[14:15], v[12:13]
	s_delay_alu instid0(VALU_DEP_1) | instskip(SKIP_2) | instid1(VALU_DEP_3)
	v_div_fmas_f64 v[4:5], v[4:5], v[10:11], v[14:15]
	v_cndmask_b32_e64 v15, 0xbff19999, v26, s3
	v_cndmask_b32_e64 v14, 0x9999999a, 0, s3
	v_div_fixup_f64 v[2:3], v[4:5], v[6:7], v[2:3]
	s_delay_alu instid0(VALU_DEP_1) | instskip(SKIP_2) | instid1(VALU_DEP_3)
	v_mul_f64_e32 v[4:5], 0x3ff71547652b82fe, v[2:3]
	v_cmp_nlt_f64_e32 vcc_lo, 0x40900000, v[2:3]
	v_cmp_ngt_f64_e64 s4, 0xc090cc00, v[2:3]
	v_rndne_f64_e32 v[4:5], v[4:5]
	s_delay_alu instid0(VALU_DEP_1) | instskip(SKIP_1) | instid1(VALU_DEP_2)
	v_fmamk_f64 v[6:7], v[4:5], 0xbfe62e42fefa39ef, v[2:3]
	v_mul_f64_e32 v[2:3], v[14:15], v[0:1]
	v_fmac_f64_e32 v[6:7], 0xbc7abc9e3b39803f, v[4:5]
	v_cvt_i32_f64_e32 v4, v[4:5]
	s_delay_alu instid0(VALU_DEP_2) | instskip(NEXT) | instid1(VALU_DEP_1)
	v_fmamk_f64 v[10:11], v[6:7], 0x3e5ade156a5dcb37, v[44:45]
	v_fmaak_f64 v[10:11], v[6:7], v[10:11], 0x3ec71dee623fde64
	s_delay_alu instid0(VALU_DEP_1) | instskip(NEXT) | instid1(VALU_DEP_1)
	v_fmaak_f64 v[10:11], v[6:7], v[10:11], 0x3efa01997c89e6b0
	v_fmaak_f64 v[10:11], v[6:7], v[10:11], 0x3f2a01a014761f6e
	s_delay_alu instid0(VALU_DEP_1) | instskip(NEXT) | instid1(VALU_DEP_1)
	v_fmaak_f64 v[10:11], v[6:7], v[10:11], 0x3f56c16c1852b7b0
	;; [unrolled: 3-line block ×4, first 2 shown]
	v_fma_f64 v[10:11], v[6:7], v[10:11], 1.0
	s_delay_alu instid0(VALU_DEP_1) | instskip(NEXT) | instid1(VALU_DEP_1)
	v_fma_f64 v[6:7], v[6:7], v[10:11], 1.0
	v_ldexp_f64 v[4:5], v[6:7], v4
	s_delay_alu instid0(VALU_DEP_1) | instskip(NEXT) | instid1(VALU_DEP_1)
	v_mul_f64_e32 v[4:5], 0x417c9c38, v[4:5]
	v_cndmask_b32_e32 v5, 0x7ff00000, v5, vcc_lo
	s_and_b32 vcc_lo, s4, vcc_lo
	s_delay_alu instid0(VALU_DEP_2) | instskip(SKIP_3) | instid1(VALU_DEP_2)
	v_cndmask_b32_e32 v6, 0, v4, vcc_lo
	v_cmp_class_f64_e64 vcc_lo, v[2:3], 0x204
	v_fma_f64 v[0:1], v[14:15], v[0:1], -v[2:3]
	v_cndmask_b32_e64 v7, 0, v5, s4
	v_fmac_f64_e32 v[0:1], v[14:15], v[20:21]
	s_delay_alu instid0(VALU_DEP_1) | instskip(SKIP_1) | instid1(VALU_DEP_2)
	v_add_f64_e32 v[4:5], v[2:3], v[0:1]
	v_mul_f64_e64 v[54:55], s[12:13], -v[52:53]
	v_add_f64_e64 v[10:11], v[4:5], -v[2:3]
	v_dual_cndmask_b32 v3, v5, v3 :: v_dual_cndmask_b32 v2, v4, v2
	s_delay_alu instid0(VALU_DEP_1) | instskip(SKIP_3) | instid1(VALU_DEP_4)
	v_mul_f64_e32 v[4:5], 0x3ff71547652b82fe, v[2:3]
	v_cmp_neq_f64_e64 vcc_lo, 0x7ff00000, |v[2:3]|
	v_cmp_ngt_f64_e64 s3, 0xc090cc00, v[2:3]
	v_add_f64_e64 v[0:1], v[0:1], -v[10:11]
	v_rndne_f64_e32 v[4:5], v[4:5]
	s_delay_alu instid0(VALU_DEP_2) | instskip(SKIP_1) | instid1(VALU_DEP_3)
	v_dual_cndmask_b32 v1, 0, v1 :: v_dual_cndmask_b32 v0, 0, v0
	v_cmp_nlt_f64_e32 vcc_lo, 0x40900000, v[2:3]
	v_fmamk_f64 v[10:11], v[4:5], 0xbfe62e42fefa39ef, v[2:3]
	s_delay_alu instid0(VALU_DEP_1) | instskip(SKIP_1) | instid1(VALU_DEP_2)
	v_fmac_f64_e32 v[10:11], 0xbc7abc9e3b39803f, v[4:5]
	v_cvt_i32_f64_e32 v4, v[4:5]
	v_fmamk_f64 v[12:13], v[10:11], 0x3e5ade156a5dcb37, v[44:45]
	s_delay_alu instid0(VALU_DEP_1) | instskip(NEXT) | instid1(VALU_DEP_1)
	v_fmaak_f64 v[12:13], v[10:11], v[12:13], 0x3ec71dee623fde64
	v_fmaak_f64 v[12:13], v[10:11], v[12:13], 0x3efa01997c89e6b0
	s_delay_alu instid0(VALU_DEP_1) | instskip(NEXT) | instid1(VALU_DEP_1)
	v_fmaak_f64 v[12:13], v[10:11], v[12:13], 0x3f2a01a014761f6e
	v_fmaak_f64 v[12:13], v[10:11], v[12:13], 0x3f56c16c1852b7b0
	;; [unrolled: 3-line block ×4, first 2 shown]
	s_delay_alu instid0(VALU_DEP_1) | instskip(NEXT) | instid1(VALU_DEP_1)
	v_fma_f64 v[12:13], v[10:11], v[12:13], 1.0
	v_fma_f64 v[10:11], v[10:11], v[12:13], 1.0
	s_delay_alu instid0(VALU_DEP_1) | instskip(NEXT) | instid1(VALU_DEP_1)
	v_ldexp_f64 v[4:5], v[10:11], v4
	v_cndmask_b32_e32 v5, 0x7ff00000, v5, vcc_lo
	s_and_b32 vcc_lo, s3, vcc_lo
	s_delay_alu instid0(VALU_DEP_1) | instid1(SALU_CYCLE_1)
	v_dual_cndmask_b32 v2, 0, v4, vcc_lo :: v_dual_cndmask_b32 v3, 0, v5, s3
	s_delay_alu instid0(VALU_DEP_1) | instskip(SKIP_1) | instid1(VALU_DEP_2)
	v_fma_f64 v[0:1], v[2:3], v[0:1], v[2:3]
	v_cmp_class_f64_e64 vcc_lo, v[2:3], 0x204
	v_dual_cndmask_b32 v4, v0, v2 :: v_dual_cndmask_b32 v5, v1, v3
	v_trunc_f64_e32 v[0:1], v[14:15]
	s_delay_alu instid0(VALU_DEP_1) | instskip(SKIP_1) | instid1(VALU_DEP_1)
	v_cmp_eq_f64_e32 vcc_lo, v[0:1], v[14:15]
	v_mul_f64_e32 v[0:1], 0.5, v[14:15]
	v_trunc_f64_e32 v[2:3], v[0:1]
	s_delay_alu instid0(VALU_DEP_1) | instskip(SKIP_2) | instid1(SALU_CYCLE_1)
	v_cmp_neq_f64_e64 s3, v[2:3], v[0:1]
	v_cndmask_b32_e32 v1, 0, v4, vcc_lo
	s_and_b32 s3, vcc_lo, s3
	v_cndmask_b32_e64 v0, 0x3ff00000, v75, s3
	v_cndmask_b32_e64 v3, 0, v75, s3
	s_delay_alu instid0(VALU_DEP_2) | instskip(NEXT) | instid1(VALU_DEP_1)
	v_bfi_b32 v0, 0x7fffffff, v5, v0
	v_cndmask_b32_e32 v2, 0x7ff80000, v0, vcc_lo
	v_cmp_gt_f64_e32 vcc_lo, 0, v[14:15]
	s_delay_alu instid0(VALU_DEP_2) | instskip(SKIP_1) | instid1(VALU_DEP_1)
	v_cndmask_b32_e64 v2, v0, v2, s2
	v_cndmask_b32_e64 v0, v4, v1, s2
	;; [unrolled: 1-line block ×3, first 2 shown]
	s_xor_b32 s1, s1, vcc_lo
	s_delay_alu instid0(SALU_CYCLE_1) | instskip(NEXT) | instid1(VALU_DEP_1)
	v_cndmask_b32_e64 v1, 0x7ff00000, 0, s1
	v_bfi_b32 v1, 0x7fffffff, v1, v3
	s_delay_alu instid0(VALU_DEP_1) | instskip(NEXT) | instid1(VALU_DEP_1)
	v_cndmask_b32_e64 v1, v2, v1, s0
	v_mul_f64_e32 v[6:7], v[0:1], v[6:7]
	s_delay_alu instid0(VALU_DEP_1) | instskip(NEXT) | instid1(VALU_DEP_1)
	v_mul_f64_e32 v[0:1], 0x40041b2f763a43f4, v[6:7]
	v_mul_f64_e32 v[0:1], 0x3b002d36d69d246c, v[0:1]
	s_delay_alu instid0(VALU_DEP_1) | instskip(NEXT) | instid1(VALU_DEP_1)
	v_mul_f64_e32 v[0:1], 0x421beb9bf3a00000, v[0:1]
	v_mul_f64_e32 v[0:1], 0x421beb9bf3a00000, v[0:1]
	s_delay_alu instid0(VALU_DEP_1) | instskip(NEXT) | instid1(VALU_DEP_1)
	v_div_scale_f64 v[2:3], null, 0x40180000, 0x40180000, v[0:1]
	v_rcp_f64_e32 v[4:5], v[2:3]
	v_nop
	s_delay_alu instid0(TRANS32_DEP_1) | instskip(NEXT) | instid1(VALU_DEP_1)
	v_fma_f64 v[10:11], -v[2:3], v[4:5], 1.0
	v_fmac_f64_e32 v[4:5], v[4:5], v[10:11]
	s_delay_alu instid0(VALU_DEP_1) | instskip(NEXT) | instid1(VALU_DEP_1)
	v_fma_f64 v[10:11], -v[2:3], v[4:5], 1.0
	v_fmac_f64_e32 v[4:5], v[4:5], v[10:11]
	v_div_scale_f64 v[10:11], vcc_lo, v[0:1], 0x40180000, v[0:1]
	s_delay_alu instid0(VALU_DEP_1) | instskip(NEXT) | instid1(VALU_DEP_1)
	v_mul_f64_e32 v[12:13], v[10:11], v[4:5]
	v_fma_f64 v[2:3], -v[2:3], v[12:13], v[10:11]
	s_delay_alu instid0(VALU_DEP_1) | instskip(NEXT) | instid1(VALU_DEP_1)
	v_div_fmas_f64 v[2:3], v[2:3], v[4:5], v[12:13]
	v_div_fixup_f64 v[0:1], v[2:3], 0x40180000, v[0:1]
	s_delay_alu instid0(VALU_DEP_1) | instskip(NEXT) | instid1(VALU_DEP_1)
	v_div_scale_f64 v[2:3], null, v[74:75], v[74:75], v[0:1]
	v_rcp_f64_e32 v[4:5], v[2:3]
	v_nop
	s_delay_alu instid0(TRANS32_DEP_1) | instskip(NEXT) | instid1(VALU_DEP_1)
	v_fma_f64 v[10:11], -v[2:3], v[4:5], 1.0
	v_fmac_f64_e32 v[4:5], v[4:5], v[10:11]
	s_delay_alu instid0(VALU_DEP_1) | instskip(NEXT) | instid1(VALU_DEP_1)
	v_fma_f64 v[10:11], -v[2:3], v[4:5], 1.0
	v_fmac_f64_e32 v[4:5], v[4:5], v[10:11]
	v_div_scale_f64 v[10:11], vcc_lo, v[0:1], v[74:75], v[0:1]
	s_delay_alu instid0(VALU_DEP_1) | instskip(NEXT) | instid1(VALU_DEP_1)
	v_mul_f64_e32 v[12:13], v[10:11], v[4:5]
	v_fma_f64 v[2:3], -v[2:3], v[12:13], v[10:11]
	s_delay_alu instid0(VALU_DEP_1) | instskip(NEXT) | instid1(VALU_DEP_1)
	v_div_fmas_f64 v[2:3], v[2:3], v[4:5], v[12:13]
	v_div_fixup_f64 v[0:1], v[2:3], v[74:75], v[0:1]
	s_delay_alu instid0(VALU_DEP_1) | instskip(SKIP_1) | instid1(VALU_DEP_1)
	v_cmp_gt_f64_e32 vcc_lo, 0x10000000, v[0:1]
	v_cndmask_b32_e64 v2, 0, 0x100, vcc_lo
	v_ldexp_f64 v[0:1], v[0:1], v2
	s_delay_alu instid0(VALU_DEP_1) | instskip(SKIP_1) | instid1(TRANS32_DEP_1)
	v_rsq_f64_e32 v[2:3], v[0:1]
	v_nop
	v_mul_f64_e32 v[4:5], v[0:1], v[2:3]
	v_mul_f64_e32 v[2:3], 0.5, v[2:3]
	s_delay_alu instid0(VALU_DEP_1) | instskip(NEXT) | instid1(VALU_DEP_1)
	v_fma_f64 v[10:11], -v[2:3], v[4:5], 0.5
	v_fmac_f64_e32 v[4:5], v[4:5], v[10:11]
	v_fmac_f64_e32 v[2:3], v[2:3], v[10:11]
	s_delay_alu instid0(VALU_DEP_2) | instskip(NEXT) | instid1(VALU_DEP_1)
	v_fma_f64 v[12:13], -v[4:5], v[4:5], v[0:1]
	v_fmac_f64_e32 v[4:5], v[12:13], v[2:3]
	s_delay_alu instid0(VALU_DEP_1) | instskip(NEXT) | instid1(VALU_DEP_1)
	v_fma_f64 v[10:11], -v[4:5], v[4:5], v[0:1]
	v_fmac_f64_e32 v[4:5], v[10:11], v[2:3]
	v_cndmask_b32_e64 v2, 0, 0xffffff80, vcc_lo
	v_cmp_class_f64_e64 vcc_lo, v[0:1], 0x260
	s_delay_alu instid0(VALU_DEP_2) | instskip(NEXT) | instid1(VALU_DEP_1)
	v_ldexp_f64 v[2:3], v[4:5], v2
	v_dual_cndmask_b32 v1, v3, v1 :: v_dual_cndmask_b32 v0, v2, v0
	s_delay_alu instid0(VALU_DEP_1) | instskip(NEXT) | instid1(VALU_DEP_1)
	v_mul_f64_e32 v[0:1], 0x3e0080f2048a2940, v[0:1]
	v_mul_f64_e32 v[0:1], 0.5, v[0:1]
	s_delay_alu instid0(VALU_DEP_1) | instskip(NEXT) | instid1(VALU_DEP_1)
	v_div_scale_f64 v[2:3], null, s[44:45], s[44:45], v[0:1]
	v_rcp_f64_e32 v[4:5], v[2:3]
	v_nop
	s_delay_alu instid0(TRANS32_DEP_1) | instskip(NEXT) | instid1(VALU_DEP_1)
	v_fma_f64 v[10:11], -v[2:3], v[4:5], 1.0
	v_fmac_f64_e32 v[4:5], v[4:5], v[10:11]
	s_delay_alu instid0(VALU_DEP_1) | instskip(NEXT) | instid1(VALU_DEP_1)
	v_fma_f64 v[10:11], -v[2:3], v[4:5], 1.0
	v_fmac_f64_e32 v[4:5], v[4:5], v[10:11]
	v_div_scale_f64 v[10:11], vcc_lo, v[0:1], s[44:45], v[0:1]
	s_delay_alu instid0(VALU_DEP_1) | instskip(NEXT) | instid1(VALU_DEP_1)
	v_mul_f64_e32 v[12:13], v[10:11], v[4:5]
	v_fma_f64 v[2:3], -v[2:3], v[12:13], v[10:11]
	s_delay_alu instid0(VALU_DEP_1) | instskip(NEXT) | instid1(VALU_DEP_1)
	v_div_fmas_f64 v[2:3], v[2:3], v[4:5], v[12:13]
	v_div_fixup_f64 v[0:1], v[2:3], s[44:45], v[0:1]
	s_delay_alu instid0(VALU_DEP_1) | instskip(NEXT) | instid1(VALU_DEP_1)
	v_div_scale_f64 v[2:3], null, s[38:39], s[38:39], v[0:1]
	v_rcp_f64_e32 v[4:5], v[2:3]
	v_nop
	s_delay_alu instid0(TRANS32_DEP_1) | instskip(NEXT) | instid1(VALU_DEP_1)
	v_fma_f64 v[10:11], -v[2:3], v[4:5], 1.0
	v_fmac_f64_e32 v[4:5], v[4:5], v[10:11]
	s_delay_alu instid0(VALU_DEP_1) | instskip(NEXT) | instid1(VALU_DEP_1)
	v_fma_f64 v[10:11], -v[2:3], v[4:5], 1.0
	v_fmac_f64_e32 v[4:5], v[4:5], v[10:11]
	v_div_scale_f64 v[10:11], vcc_lo, v[0:1], s[38:39], v[0:1]
	s_delay_alu instid0(VALU_DEP_1) | instskip(NEXT) | instid1(VALU_DEP_1)
	v_mul_f64_e32 v[12:13], v[10:11], v[4:5]
	v_fma_f64 v[2:3], -v[2:3], v[12:13], v[10:11]
	s_delay_alu instid0(VALU_DEP_1) | instskip(NEXT) | instid1(VALU_DEP_1)
	v_div_fmas_f64 v[2:3], v[2:3], v[4:5], v[12:13]
	v_div_fixup_f64 v[0:1], v[2:3], s[38:39], v[0:1]
	;; [unrolled: 17-line block ×3, first 2 shown]
	v_add_f64_e32 v[0:1], v[54:55], v[54:55]
	s_delay_alu instid0(VALU_DEP_1) | instskip(NEXT) | instid1(VALU_DEP_1)
	v_div_scale_f64 v[2:3], null, 0x40080000, 0x40080000, v[0:1]
	v_rcp_f64_e32 v[4:5], v[2:3]
	v_nop
	s_delay_alu instid0(TRANS32_DEP_1) | instskip(NEXT) | instid1(VALU_DEP_1)
	v_fma_f64 v[10:11], -v[2:3], v[4:5], 1.0
	v_fmac_f64_e32 v[4:5], v[4:5], v[10:11]
	s_delay_alu instid0(VALU_DEP_1) | instskip(NEXT) | instid1(VALU_DEP_1)
	v_fma_f64 v[10:11], -v[2:3], v[4:5], 1.0
	v_fmac_f64_e32 v[4:5], v[4:5], v[10:11]
	v_div_scale_f64 v[10:11], vcc_lo, v[0:1], 0x40080000, v[0:1]
	s_delay_alu instid0(VALU_DEP_1) | instskip(NEXT) | instid1(VALU_DEP_1)
	v_mul_f64_e32 v[12:13], v[10:11], v[4:5]
	v_fma_f64 v[2:3], -v[2:3], v[12:13], v[10:11]
	s_delay_alu instid0(VALU_DEP_1) | instskip(NEXT) | instid1(VALU_DEP_1)
	v_div_fmas_f64 v[2:3], v[2:3], v[4:5], v[12:13]
	v_div_fixup_f64 v[2:3], v[2:3], 0x40080000, v[0:1]
	v_mul_f64_e32 v[0:1], v[54:55], v[0:1]
	s_delay_alu instid0(VALU_DEP_2) | instskip(NEXT) | instid1(VALU_DEP_2)
	v_div_scale_f64 v[4:5], null, v[14:15], v[14:15], v[2:3]
	v_mul_f64_e32 v[0:1], v[54:55], v[0:1]
	s_delay_alu instid0(VALU_DEP_2) | instskip(NEXT) | instid1(VALU_DEP_1)
	v_rcp_f64_e32 v[10:11], v[4:5]
	v_mul_f64_e32 v[0:1], 0x3a8067c6380646ba, v[0:1]
	s_delay_alu instid0(TRANS32_DEP_1) | instskip(NEXT) | instid1(VALU_DEP_1)
	v_fma_f64 v[12:13], -v[4:5], v[10:11], 1.0
	v_fmac_f64_e32 v[10:11], v[10:11], v[12:13]
	s_delay_alu instid0(VALU_DEP_1) | instskip(NEXT) | instid1(VALU_DEP_1)
	v_fma_f64 v[12:13], -v[4:5], v[10:11], 1.0
	v_fmac_f64_e32 v[10:11], v[10:11], v[12:13]
	v_div_scale_f64 v[12:13], vcc_lo, v[2:3], v[14:15], v[2:3]
	s_delay_alu instid0(VALU_DEP_1) | instskip(NEXT) | instid1(VALU_DEP_1)
	v_mul_f64_e32 v[16:17], v[12:13], v[10:11]
	v_fma_f64 v[4:5], -v[4:5], v[16:17], v[12:13]
	s_delay_alu instid0(VALU_DEP_1) | instskip(NEXT) | instid1(VALU_DEP_1)
	v_div_fmas_f64 v[4:5], v[4:5], v[10:11], v[16:17]
	v_div_fixup_f64 v[2:3], v[4:5], v[14:15], v[2:3]
	s_delay_alu instid0(VALU_DEP_1) | instskip(NEXT) | instid1(VALU_DEP_1)
	v_div_scale_f64 v[4:5], null, v[58:59], v[58:59], v[2:3]
	v_rcp_f64_e32 v[10:11], v[4:5]
	v_nop
	s_delay_alu instid0(TRANS32_DEP_1) | instskip(NEXT) | instid1(VALU_DEP_1)
	v_fma_f64 v[12:13], -v[4:5], v[10:11], 1.0
	v_fmac_f64_e32 v[10:11], v[10:11], v[12:13]
	s_delay_alu instid0(VALU_DEP_1) | instskip(NEXT) | instid1(VALU_DEP_1)
	v_fma_f64 v[12:13], -v[4:5], v[10:11], 1.0
	v_fmac_f64_e32 v[10:11], v[10:11], v[12:13]
	v_div_scale_f64 v[12:13], vcc_lo, v[2:3], v[58:59], v[2:3]
	s_delay_alu instid0(VALU_DEP_1) | instskip(NEXT) | instid1(VALU_DEP_1)
	v_mul_f64_e32 v[14:15], v[12:13], v[10:11]
	v_fma_f64 v[4:5], -v[4:5], v[14:15], v[12:13]
	s_delay_alu instid0(VALU_DEP_1) | instskip(NEXT) | instid1(VALU_DEP_1)
	v_div_fmas_f64 v[4:5], v[4:5], v[10:11], v[14:15]
	v_div_fixup_f64 v[2:3], v[4:5], v[58:59], v[2:3]
	s_delay_alu instid0(VALU_DEP_1) | instskip(NEXT) | instid1(VALU_DEP_1)
	v_div_scale_f64 v[4:5], null, v[58:59], v[58:59], v[2:3]
	v_rcp_f64_e32 v[10:11], v[4:5]
	v_nop
	s_delay_alu instid0(TRANS32_DEP_1) | instskip(NEXT) | instid1(VALU_DEP_1)
	v_fma_f64 v[12:13], -v[4:5], v[10:11], 1.0
	v_fmac_f64_e32 v[10:11], v[10:11], v[12:13]
	s_delay_alu instid0(VALU_DEP_1) | instskip(NEXT) | instid1(VALU_DEP_1)
	v_fma_f64 v[12:13], -v[4:5], v[10:11], 1.0
	v_fmac_f64_e32 v[10:11], v[10:11], v[12:13]
	v_div_scale_f64 v[12:13], vcc_lo, v[2:3], v[58:59], v[2:3]
	s_delay_alu instid0(VALU_DEP_1) | instskip(NEXT) | instid1(VALU_DEP_1)
	v_mul_f64_e32 v[14:15], v[12:13], v[10:11]
	v_fma_f64 v[4:5], -v[4:5], v[14:15], v[12:13]
	s_delay_alu instid0(VALU_DEP_1) | instskip(NEXT) | instid1(VALU_DEP_1)
	v_div_fmas_f64 v[4:5], v[4:5], v[10:11], v[14:15]
	v_div_fixup_f64 v[16:17], v[4:5], v[58:59], v[2:3]
	v_mul_f64_e32 v[2:3], 0x402921fb53c8d4f1, v[6:7]
	s_delay_alu instid0(VALU_DEP_2) | instskip(NEXT) | instid1(VALU_DEP_2)
	v_cmp_eq_f64_e64 s0, 1.0, v[16:17]
	v_mul_f64_e32 v[2:3], 0x3e0080f2048a2940, v[2:3]
	v_cmp_class_f64_e64 s2, v[16:17], 0x204
	s_delay_alu instid0(VALU_DEP_3) | instskip(NEXT) | instid1(VALU_DEP_3)
	v_cndmask_b32_e64 v21, 0x3fc55555, v26, s0
	v_mul_f64_e32 v[2:3], 0x3e0080f2048a2940, v[2:3]
	v_cndmask_b32_e64 v20, 0x55555555, 0, s0
	v_cndmask_b32_e64 v41, 0x3fd00000, v26, s0
	s_delay_alu instid0(VALU_DEP_3) | instskip(NEXT) | instid1(VALU_DEP_1)
	v_mul_f64_e32 v[2:3], v[54:55], v[2:3]
	v_div_scale_f64 v[4:5], null, s[46:47], s[46:47], v[2:3]
	s_delay_alu instid0(VALU_DEP_1) | instskip(SKIP_1) | instid1(TRANS32_DEP_1)
	v_rcp_f64_e32 v[6:7], v[4:5]
	v_nop
	v_fma_f64 v[10:11], -v[4:5], v[6:7], 1.0
	s_delay_alu instid0(VALU_DEP_1) | instskip(NEXT) | instid1(VALU_DEP_1)
	v_fmac_f64_e32 v[6:7], v[6:7], v[10:11]
	v_fma_f64 v[10:11], -v[4:5], v[6:7], 1.0
	s_delay_alu instid0(VALU_DEP_1) | instskip(SKIP_1) | instid1(VALU_DEP_1)
	v_fmac_f64_e32 v[6:7], v[6:7], v[10:11]
	v_div_scale_f64 v[10:11], vcc_lo, v[2:3], s[46:47], v[2:3]
	v_mul_f64_e32 v[12:13], v[10:11], v[6:7]
	s_delay_alu instid0(VALU_DEP_1) | instskip(NEXT) | instid1(VALU_DEP_1)
	v_fma_f64 v[4:5], -v[4:5], v[12:13], v[10:11]
	v_div_fmas_f64 v[4:5], v[4:5], v[6:7], v[12:13]
	s_delay_alu instid0(VALU_DEP_1) | instskip(NEXT) | instid1(VALU_DEP_1)
	v_div_fixup_f64 v[2:3], v[4:5], s[46:47], v[2:3]
	v_div_scale_f64 v[4:5], null, v[60:61], v[60:61], v[2:3]
	s_delay_alu instid0(VALU_DEP_1) | instskip(SKIP_1) | instid1(TRANS32_DEP_1)
	v_rcp_f64_e32 v[6:7], v[4:5]
	v_nop
	v_fma_f64 v[10:11], -v[4:5], v[6:7], 1.0
	s_delay_alu instid0(VALU_DEP_1) | instskip(NEXT) | instid1(VALU_DEP_1)
	v_fmac_f64_e32 v[6:7], v[6:7], v[10:11]
	v_fma_f64 v[10:11], -v[4:5], v[6:7], 1.0
	s_delay_alu instid0(VALU_DEP_1) | instskip(SKIP_1) | instid1(VALU_DEP_1)
	v_fmac_f64_e32 v[6:7], v[6:7], v[10:11]
	v_div_scale_f64 v[10:11], vcc_lo, v[2:3], v[60:61], v[2:3]
	v_mul_f64_e32 v[12:13], v[10:11], v[6:7]
	s_delay_alu instid0(VALU_DEP_1) | instskip(NEXT) | instid1(VALU_DEP_1)
	v_fma_f64 v[4:5], -v[4:5], v[12:13], v[10:11]
	v_div_fmas_f64 v[4:5], v[4:5], v[6:7], v[12:13]
	s_delay_alu instid0(VALU_DEP_1) | instskip(NEXT) | instid1(VALU_DEP_1)
	v_div_fixup_f64 v[2:3], v[4:5], v[60:61], v[2:3]
	v_div_scale_f64 v[4:5], null, s[40:41], s[40:41], v[2:3]
	s_delay_alu instid0(VALU_DEP_1) | instskip(SKIP_1) | instid1(TRANS32_DEP_1)
	v_rcp_f64_e32 v[6:7], v[4:5]
	v_nop
	v_fma_f64 v[10:11], -v[4:5], v[6:7], 1.0
	s_delay_alu instid0(VALU_DEP_1) | instskip(NEXT) | instid1(VALU_DEP_1)
	v_fmac_f64_e32 v[6:7], v[6:7], v[10:11]
	v_fma_f64 v[10:11], -v[4:5], v[6:7], 1.0
	s_delay_alu instid0(VALU_DEP_1) | instskip(SKIP_1) | instid1(VALU_DEP_1)
	v_fmac_f64_e32 v[6:7], v[6:7], v[10:11]
	v_div_scale_f64 v[10:11], vcc_lo, v[2:3], s[40:41], v[2:3]
	v_mul_f64_e32 v[12:13], v[10:11], v[6:7]
	s_delay_alu instid0(VALU_DEP_1) | instskip(NEXT) | instid1(VALU_DEP_1)
	v_fma_f64 v[4:5], -v[4:5], v[12:13], v[10:11]
	v_div_fmas_f64 v[4:5], v[4:5], v[6:7], v[12:13]
	s_delay_alu instid0(VALU_DEP_1) | instskip(SKIP_2) | instid1(VALU_DEP_2)
	v_div_fixup_f64 v[18:19], v[4:5], s[40:41], v[2:3]
	v_frexp_mant_f64_e64 v[2:3], |v[16:17]|
	v_frexp_exp_i32_f64_e32 v4, v[16:17]
	v_cmp_gt_f64_e32 vcc_lo, s[14:15], v[2:3]
	v_cndmask_b32_e64 v5, 0, 1, vcc_lo
	s_delay_alu instid0(VALU_DEP_3) | instskip(NEXT) | instid1(VALU_DEP_2)
	v_subrev_co_ci_u32_e64 v24, null, 0, v4, vcc_lo
	v_ldexp_f64 v[2:3], v[2:3], v5
	s_delay_alu instid0(VALU_DEP_1) | instskip(SKIP_1) | instid1(VALU_DEP_2)
	v_add_f64_e32 v[6:7], 1.0, v[2:3]
	v_add_f64_e32 v[4:5], -1.0, v[2:3]
	v_add_f64_e32 v[10:11], -1.0, v[6:7]
	s_delay_alu instid0(VALU_DEP_1) | instskip(SKIP_2) | instid1(TRANS32_DEP_1)
	v_add_f64_e64 v[2:3], v[2:3], -v[10:11]
	v_rcp_f64_e32 v[10:11], v[6:7]
	v_nop
	v_fma_f64 v[12:13], -v[6:7], v[10:11], 1.0
	s_delay_alu instid0(VALU_DEP_1) | instskip(NEXT) | instid1(VALU_DEP_1)
	v_fmac_f64_e32 v[10:11], v[12:13], v[10:11]
	v_fma_f64 v[12:13], -v[6:7], v[10:11], 1.0
	s_delay_alu instid0(VALU_DEP_1) | instskip(NEXT) | instid1(VALU_DEP_1)
	v_fmac_f64_e32 v[10:11], v[12:13], v[10:11]
	v_mul_f64_e32 v[12:13], v[4:5], v[10:11]
	s_delay_alu instid0(VALU_DEP_1) | instskip(NEXT) | instid1(VALU_DEP_1)
	v_mul_f64_e32 v[14:15], v[6:7], v[12:13]
	v_fma_f64 v[6:7], v[12:13], v[6:7], -v[14:15]
	s_delay_alu instid0(VALU_DEP_1) | instskip(NEXT) | instid1(VALU_DEP_1)
	v_fmac_f64_e32 v[6:7], v[12:13], v[2:3]
	v_add_f64_e32 v[2:3], v[14:15], v[6:7]
	s_delay_alu instid0(VALU_DEP_1) | instskip(SKIP_1) | instid1(VALU_DEP_2)
	v_add_f64_e64 v[22:23], v[4:5], -v[2:3]
	v_add_f64_e64 v[14:15], v[2:3], -v[14:15]
	v_add_f64_e64 v[4:5], v[4:5], -v[22:23]
	s_delay_alu instid0(VALU_DEP_1) | instskip(NEXT) | instid1(VALU_DEP_3)
	v_add_f64_e64 v[2:3], v[4:5], -v[2:3]
	v_add_f64_e64 v[4:5], v[14:15], -v[6:7]
	s_delay_alu instid0(VALU_DEP_1) | instskip(NEXT) | instid1(VALU_DEP_1)
	v_add_f64_e32 v[2:3], v[4:5], v[2:3]
	v_add_f64_e32 v[2:3], v[22:23], v[2:3]
	s_delay_alu instid0(VALU_DEP_1) | instskip(NEXT) | instid1(VALU_DEP_1)
	v_mul_f64_e32 v[2:3], v[10:11], v[2:3]
	v_add_f64_e32 v[4:5], v[12:13], v[2:3]
	s_delay_alu instid0(VALU_DEP_1) | instskip(SKIP_1) | instid1(VALU_DEP_2)
	v_add_f64_e64 v[6:7], v[4:5], -v[12:13]
	v_ldexp_f64 v[34:35], v[4:5], 1
	v_add_f64_e64 v[2:3], v[2:3], -v[6:7]
	v_mul_f64_e32 v[6:7], v[4:5], v[4:5]
	s_delay_alu instid0(VALU_DEP_2) | instskip(NEXT) | instid1(VALU_DEP_2)
	v_add_f64_e32 v[12:13], v[2:3], v[2:3]
	v_fma_f64 v[10:11], v[4:5], v[4:5], -v[6:7]
	v_ldexp_f64 v[32:33], v[2:3], 1
	s_delay_alu instid0(VALU_DEP_2) | instskip(NEXT) | instid1(VALU_DEP_1)
	v_fmac_f64_e32 v[10:11], v[4:5], v[12:13]
	v_add_f64_e32 v[12:13], v[6:7], v[10:11]
	s_delay_alu instid0(VALU_DEP_1) | instskip(NEXT) | instid1(VALU_DEP_1)
	v_add_f64_e64 v[6:7], v[12:13], -v[6:7]
	v_add_f64_e64 v[10:11], v[10:11], -v[6:7]
	v_mov_b64_e32 v[6:7], 0x3fba6564968915a9
	s_delay_alu instid0(VALU_DEP_1) | instskip(NEXT) | instid1(VALU_DEP_1)
	v_fmamk_f64 v[6:7], v[12:13], 0x3fbdee674222de17, v[6:7]
	v_fmaak_f64 v[6:7], v[12:13], v[6:7], 0x3fbe25e43abe935a
	s_delay_alu instid0(VALU_DEP_1) | instskip(NEXT) | instid1(VALU_DEP_1)
	v_fmaak_f64 v[6:7], v[12:13], v[6:7], 0x3fc110ef47e6c9c2
	v_fmaak_f64 v[6:7], v[12:13], v[6:7], 0x3fc3b13bcfa74449
	s_delay_alu instid0(VALU_DEP_1) | instskip(NEXT) | instid1(VALU_DEP_1)
	v_fmaak_f64 v[6:7], v[12:13], v[6:7], 0x3fc745d171bf3c30
	;; [unrolled: 3-line block ×3, first 2 shown]
	v_fmaak_f64 v[22:23], v[12:13], v[6:7], 0x3fd999999999999c
	v_cvt_f64_i32_e32 v[6:7], v24
	s_delay_alu instid0(VALU_DEP_1) | instskip(NEXT) | instid1(VALU_DEP_1)
	v_mul_f64_e32 v[24:25], 0x3fe62e42fefa39ef, v[6:7]
	v_fma_f64 v[30:31], v[6:7], s[16:17], -v[24:25]
	s_delay_alu instid0(VALU_DEP_1) | instskip(NEXT) | instid1(VALU_DEP_1)
	v_fmac_f64_e32 v[30:31], 0x3c7abc9e3b39803f, v[6:7]
	v_add_f64_e32 v[14:15], v[24:25], v[30:31]
	s_delay_alu instid0(VALU_DEP_1) | instskip(SKIP_1) | instid1(VALU_DEP_2)
	v_add_f64_e64 v[6:7], v[14:15], -v[24:25]
	v_mul_f64_e32 v[24:25], v[4:5], v[12:13]
	v_add_f64_e64 v[6:7], v[30:31], -v[6:7]
	s_delay_alu instid0(VALU_DEP_2) | instskip(NEXT) | instid1(VALU_DEP_1)
	v_fma_f64 v[30:31], v[12:13], v[4:5], -v[24:25]
	v_fmac_f64_e32 v[30:31], v[12:13], v[2:3]
	s_delay_alu instid0(VALU_DEP_1) | instskip(NEXT) | instid1(VALU_DEP_1)
	v_fmac_f64_e32 v[30:31], v[10:11], v[4:5]
	v_add_f64_e32 v[36:37], v[24:25], v[30:31]
	s_delay_alu instid0(VALU_DEP_1) | instskip(NEXT) | instid1(VALU_DEP_1)
	v_add_f64_e64 v[2:3], v[36:37], -v[24:25]
	v_add_f64_e64 v[38:39], v[30:31], -v[2:3]
	v_mul_f64_e32 v[2:3], v[12:13], v[22:23]
	s_delay_alu instid0(VALU_DEP_1) | instskip(NEXT) | instid1(VALU_DEP_1)
	v_fma_f64 v[4:5], v[12:13], v[22:23], -v[2:3]
	v_fmac_f64_e32 v[4:5], v[10:11], v[22:23]
	s_delay_alu instid0(VALU_DEP_1) | instskip(NEXT) | instid1(VALU_DEP_1)
	v_add_f64_e32 v[10:11], v[2:3], v[4:5]
	v_add_f64_e64 v[2:3], v[10:11], -v[2:3]
	s_delay_alu instid0(VALU_DEP_1) | instskip(SKIP_1) | instid1(VALU_DEP_2)
	v_add_f64_e64 v[2:3], v[4:5], -v[2:3]
	v_add_f64_e32 v[4:5], 0x3fe5555555555555, v[10:11]
	v_add_f64_e32 v[2:3], 0x3c8543b0d5df274d, v[2:3]
	s_delay_alu instid0(VALU_DEP_2) | instskip(NEXT) | instid1(VALU_DEP_1)
	v_add_f64_e32 v[12:13], 0xbfe5555555555555, v[4:5]
	v_add_f64_e64 v[10:11], v[10:11], -v[12:13]
	s_delay_alu instid0(VALU_DEP_1) | instskip(NEXT) | instid1(VALU_DEP_1)
	v_add_f64_e32 v[2:3], v[2:3], v[10:11]
	v_add_f64_e32 v[10:11], v[4:5], v[2:3]
	s_delay_alu instid0(VALU_DEP_1) | instskip(NEXT) | instid1(VALU_DEP_1)
	v_add_f64_e64 v[4:5], v[4:5], -v[10:11]
	v_add_f64_e32 v[2:3], v[2:3], v[4:5]
	v_mul_f64_e32 v[4:5], v[36:37], v[10:11]
	s_delay_alu instid0(VALU_DEP_1) | instskip(NEXT) | instid1(VALU_DEP_1)
	v_fma_f64 v[12:13], v[36:37], v[10:11], -v[4:5]
	v_fmac_f64_e32 v[12:13], v[36:37], v[2:3]
	s_delay_alu instid0(VALU_DEP_1) | instskip(NEXT) | instid1(VALU_DEP_1)
	v_fmac_f64_e32 v[12:13], v[38:39], v[10:11]
	v_add_f64_e32 v[2:3], v[4:5], v[12:13]
	s_delay_alu instid0(VALU_DEP_1) | instskip(SKIP_1) | instid1(VALU_DEP_2)
	v_add_f64_e64 v[4:5], v[2:3], -v[4:5]
	v_add_f64_e32 v[10:11], v[34:35], v[2:3]
	v_add_f64_e64 v[4:5], v[12:13], -v[4:5]
	s_delay_alu instid0(VALU_DEP_2) | instskip(NEXT) | instid1(VALU_DEP_2)
	v_add_f64_e64 v[12:13], v[10:11], -v[34:35]
	v_add_f64_e32 v[4:5], v[32:33], v[4:5]
	s_delay_alu instid0(VALU_DEP_2) | instskip(NEXT) | instid1(VALU_DEP_1)
	v_add_f64_e64 v[2:3], v[2:3], -v[12:13]
	v_add_f64_e32 v[2:3], v[4:5], v[2:3]
	s_delay_alu instid0(VALU_DEP_1) | instskip(NEXT) | instid1(VALU_DEP_1)
	v_add_f64_e32 v[4:5], v[10:11], v[2:3]
	v_add_f64_e64 v[10:11], v[4:5], -v[10:11]
	s_delay_alu instid0(VALU_DEP_1) | instskip(SKIP_1) | instid1(VALU_DEP_1)
	v_add_f64_e64 v[2:3], v[2:3], -v[10:11]
	v_add_f64_e32 v[10:11], v[14:15], v[4:5]
	v_add_f64_e64 v[12:13], v[10:11], -v[14:15]
	s_delay_alu instid0(VALU_DEP_1) | instskip(SKIP_2) | instid1(VALU_DEP_3)
	v_add_f64_e64 v[22:23], v[10:11], -v[12:13]
	v_add_f64_e64 v[4:5], v[4:5], -v[12:13]
	v_add_f64_e32 v[12:13], v[6:7], v[2:3]
	v_add_f64_e64 v[14:15], v[14:15], -v[22:23]
	s_delay_alu instid0(VALU_DEP_1) | instskip(NEXT) | instid1(VALU_DEP_3)
	v_add_f64_e32 v[4:5], v[4:5], v[14:15]
	v_add_f64_e64 v[14:15], v[12:13], -v[6:7]
	s_delay_alu instid0(VALU_DEP_2) | instskip(NEXT) | instid1(VALU_DEP_2)
	v_add_f64_e32 v[4:5], v[12:13], v[4:5]
	v_add_f64_e64 v[22:23], v[12:13], -v[14:15]
	v_add_f64_e64 v[2:3], v[2:3], -v[14:15]
	s_delay_alu instid0(VALU_DEP_3) | instskip(NEXT) | instid1(VALU_DEP_3)
	v_add_f64_e32 v[12:13], v[10:11], v[4:5]
	v_add_f64_e64 v[6:7], v[6:7], -v[22:23]
	s_delay_alu instid0(VALU_DEP_1) | instskip(NEXT) | instid1(VALU_DEP_3)
	v_add_f64_e32 v[2:3], v[2:3], v[6:7]
	v_add_f64_e64 v[6:7], v[12:13], -v[10:11]
	s_delay_alu instid0(VALU_DEP_1) | instskip(NEXT) | instid1(VALU_DEP_1)
	v_add_f64_e64 v[4:5], v[4:5], -v[6:7]
	v_add_f64_e32 v[2:3], v[2:3], v[4:5]
	s_delay_alu instid0(VALU_DEP_1) | instskip(NEXT) | instid1(VALU_DEP_1)
	v_add_f64_e32 v[6:7], v[12:13], v[2:3]
	v_add_f64_e64 v[4:5], v[6:7], -v[12:13]
	s_delay_alu instid0(VALU_DEP_1) | instskip(SKIP_1) | instid1(VALU_DEP_1)
	v_add_f64_e64 v[14:15], v[2:3], -v[4:5]
	v_mul_f64_e32 v[2:3], v[20:21], v[6:7]
	v_fma_f64 v[4:5], v[20:21], v[6:7], -v[2:3]
	v_cmp_class_f64_e64 vcc_lo, v[2:3], 0x204
	s_delay_alu instid0(VALU_DEP_2) | instskip(NEXT) | instid1(VALU_DEP_1)
	v_fmac_f64_e32 v[4:5], v[20:21], v[14:15]
	v_add_f64_e32 v[10:11], v[2:3], v[4:5]
	s_delay_alu instid0(VALU_DEP_1) | instskip(SKIP_1) | instid1(VALU_DEP_1)
	v_add_f64_e64 v[12:13], v[10:11], -v[2:3]
	v_dual_cndmask_b32 v3, v11, v3 :: v_dual_cndmask_b32 v2, v10, v2
	v_mul_f64_e32 v[10:11], 0x3ff71547652b82fe, v[2:3]
	v_cmp_neq_f64_e64 vcc_lo, 0x7ff00000, |v[2:3]|
	v_cmp_ngt_f64_e64 s1, 0xc090cc00, v[2:3]
	v_add_f64_e64 v[4:5], v[4:5], -v[12:13]
	s_delay_alu instid0(VALU_DEP_4) | instskip(NEXT) | instid1(VALU_DEP_2)
	v_rndne_f64_e32 v[10:11], v[10:11]
	v_dual_cndmask_b32 v5, 0, v5 :: v_dual_cndmask_b32 v4, 0, v4
	v_cmp_nlt_f64_e32 vcc_lo, 0x40900000, v[2:3]
	s_delay_alu instid0(VALU_DEP_3) | instskip(NEXT) | instid1(VALU_DEP_1)
	v_fmamk_f64 v[12:13], v[10:11], 0xbfe62e42fefa39ef, v[2:3]
	v_fmac_f64_e32 v[12:13], 0xbc7abc9e3b39803f, v[10:11]
	v_cvt_i32_f64_e32 v10, v[10:11]
	s_delay_alu instid0(VALU_DEP_2) | instskip(NEXT) | instid1(VALU_DEP_1)
	v_fmamk_f64 v[22:23], v[12:13], 0x3e5ade156a5dcb37, v[44:45]
	v_fmaak_f64 v[22:23], v[12:13], v[22:23], 0x3ec71dee623fde64
	s_delay_alu instid0(VALU_DEP_1) | instskip(NEXT) | instid1(VALU_DEP_1)
	v_fmaak_f64 v[22:23], v[12:13], v[22:23], 0x3efa01997c89e6b0
	v_fmaak_f64 v[22:23], v[12:13], v[22:23], 0x3f2a01a014761f6e
	s_delay_alu instid0(VALU_DEP_1) | instskip(NEXT) | instid1(VALU_DEP_1)
	v_fmaak_f64 v[22:23], v[12:13], v[22:23], 0x3f56c16c1852b7b0
	;; [unrolled: 3-line block ×4, first 2 shown]
	v_fma_f64 v[22:23], v[12:13], v[22:23], 1.0
	s_delay_alu instid0(VALU_DEP_1) | instskip(NEXT) | instid1(VALU_DEP_1)
	v_fma_f64 v[12:13], v[12:13], v[22:23], 1.0
	v_ldexp_f64 v[10:11], v[12:13], v10
	s_delay_alu instid0(VALU_DEP_1)
	v_cndmask_b32_e32 v11, 0x7ff00000, v11, vcc_lo
	s_and_b32 vcc_lo, s1, vcc_lo
	s_delay_alu instid0(VALU_DEP_1) | instid1(SALU_CYCLE_1)
	v_dual_cndmask_b32 v2, 0, v10, vcc_lo :: v_dual_cndmask_b32 v3, 0, v11, s1
	s_delay_alu instid0(VALU_DEP_1) | instskip(SKIP_1) | instid1(VALU_DEP_2)
	v_fma_f64 v[4:5], v[2:3], v[4:5], v[2:3]
	v_cmp_class_f64_e64 vcc_lo, v[2:3], 0x204
	v_dual_cndmask_b32 v10, v4, v2 :: v_dual_cndmask_b32 v11, v5, v3
	v_trunc_f64_e32 v[2:3], v[20:21]
	s_delay_alu instid0(VALU_DEP_1) | instskip(SKIP_2) | instid1(VALU_DEP_2)
	v_cmp_eq_f64_e32 vcc_lo, v[2:3], v[20:21]
	v_mul_f64_e32 v[2:3], 0.5, v[20:21]
	v_cndmask_b32_e64 v21, 0x3fd55555, v26, s0
	v_trunc_f64_e32 v[4:5], v[2:3]
	s_delay_alu instid0(VALU_DEP_1) | instskip(SKIP_4) | instid1(VALU_DEP_1)
	v_cmp_neq_f64_e64 s1, v[4:5], v[2:3]
	v_cndmask_b32_e32 v3, 0, v10, vcc_lo
	s_and_b32 s3, vcc_lo, s1
	v_cmp_gt_f64_e64 s1, 0, v[16:17]
	v_cndmask_b32_e64 v2, 0x3ff00000, v17, s3
	v_bfi_b32 v2, 0x7fffffff, v11, v2
	s_delay_alu instid0(VALU_DEP_1) | instskip(SKIP_1) | instid1(VALU_DEP_2)
	v_cndmask_b32_e32 v4, 0x7ff80000, v2, vcc_lo
	v_cmp_eq_f64_e32 vcc_lo, 0, v[16:17]
	v_cndmask_b32_e64 v4, v2, v4, s1
	v_dual_cndmask_b32 v2, v10, v3, s1 :: v_dual_cndmask_b32 v3, 0, v17, s3
	v_cmp_u_f64_e64 s3, v[16:17], v[16:17]
	v_cndmask_b32_e64 v10, 0x7ff00000, 0, vcc_lo
	s_or_b32 s2, vcc_lo, s2
	s_delay_alu instid0(SALU_CYCLE_1) | instskip(NEXT) | instid1(VALU_DEP_2)
	v_cndmask_b32_e64 v2, v2, 0, s2
	v_bfi_b32 v3, 0x7fffffff, v10, v3
	s_delay_alu instid0(VALU_DEP_1) | instskip(NEXT) | instid1(VALU_DEP_1)
	v_cndmask_b32_e64 v3, v4, v3, s2
	v_div_scale_f64 v[4:5], null, v[2:3], v[2:3], s[48:49]
	s_delay_alu instid0(VALU_DEP_1) | instskip(SKIP_1) | instid1(TRANS32_DEP_1)
	v_rcp_f64_e32 v[12:13], v[4:5]
	v_nop
	v_fma_f64 v[22:23], -v[4:5], v[12:13], 1.0
	s_delay_alu instid0(VALU_DEP_1) | instskip(NEXT) | instid1(VALU_DEP_1)
	v_fmac_f64_e32 v[12:13], v[12:13], v[22:23]
	v_fma_f64 v[22:23], -v[4:5], v[12:13], 1.0
	s_delay_alu instid0(VALU_DEP_1) | instskip(SKIP_1) | instid1(VALU_DEP_1)
	v_fmac_f64_e32 v[12:13], v[12:13], v[22:23]
	v_div_scale_f64 v[22:23], vcc_lo, s[48:49], v[2:3], s[48:49]
	v_mul_f64_e32 v[24:25], v[22:23], v[12:13]
	s_delay_alu instid0(VALU_DEP_1) | instskip(NEXT) | instid1(VALU_DEP_1)
	v_fma_f64 v[4:5], -v[4:5], v[24:25], v[22:23]
	v_div_fmas_f64 v[4:5], v[4:5], v[12:13], v[24:25]
	s_delay_alu instid0(VALU_DEP_1) | instskip(NEXT) | instid1(VALU_DEP_1)
	v_div_fixup_f64 v[2:3], v[4:5], v[2:3], s[48:49]
	v_cndmask_b32_e64 v35, v3, 0x7ff80000, s3
	s_delay_alu instid0(VALU_DEP_2) | instskip(SKIP_1) | instid1(VALU_DEP_1)
	v_cndmask_b32_e64 v34, v2, 0, s3
	v_mul_f64_e32 v[2:3], v[40:41], v[6:7]
	v_fma_f64 v[4:5], v[40:41], v[6:7], -v[2:3]
	v_cmp_class_f64_e64 vcc_lo, v[2:3], 0x204
	s_delay_alu instid0(VALU_DEP_2) | instskip(NEXT) | instid1(VALU_DEP_1)
	v_fmac_f64_e32 v[4:5], v[40:41], v[14:15]
	v_add_f64_e32 v[12:13], v[2:3], v[4:5]
	s_delay_alu instid0(VALU_DEP_1) | instskip(SKIP_1) | instid1(VALU_DEP_1)
	v_add_f64_e64 v[22:23], v[12:13], -v[2:3]
	v_dual_cndmask_b32 v3, v13, v3 :: v_dual_cndmask_b32 v2, v12, v2
	v_mul_f64_e32 v[12:13], 0x3ff71547652b82fe, v[2:3]
	v_cmp_neq_f64_e64 vcc_lo, 0x7ff00000, |v[2:3]|
	v_cmp_ngt_f64_e64 s4, 0xc090cc00, v[2:3]
	v_add_f64_e64 v[4:5], v[4:5], -v[22:23]
	s_delay_alu instid0(VALU_DEP_4) | instskip(NEXT) | instid1(VALU_DEP_2)
	v_rndne_f64_e32 v[12:13], v[12:13]
	v_dual_cndmask_b32 v5, 0, v5 :: v_dual_cndmask_b32 v4, 0, v4
	v_cmp_nlt_f64_e32 vcc_lo, 0x40900000, v[2:3]
	s_delay_alu instid0(VALU_DEP_3) | instskip(SKIP_1) | instid1(VALU_DEP_2)
	v_fmamk_f64 v[22:23], v[12:13], 0xbfe62e42fefa39ef, v[2:3]
	v_cvt_i32_f64_e32 v11, v[12:13]
	v_fmac_f64_e32 v[22:23], 0xbc7abc9e3b39803f, v[12:13]
	s_delay_alu instid0(VALU_DEP_1) | instskip(NEXT) | instid1(VALU_DEP_1)
	v_fmamk_f64 v[24:25], v[22:23], 0x3e5ade156a5dcb37, v[44:45]
	v_fmaak_f64 v[24:25], v[22:23], v[24:25], 0x3ec71dee623fde64
	s_delay_alu instid0(VALU_DEP_1) | instskip(NEXT) | instid1(VALU_DEP_1)
	v_fmaak_f64 v[24:25], v[22:23], v[24:25], 0x3efa01997c89e6b0
	v_fmaak_f64 v[24:25], v[22:23], v[24:25], 0x3f2a01a014761f6e
	s_delay_alu instid0(VALU_DEP_1) | instskip(NEXT) | instid1(VALU_DEP_1)
	v_fmaak_f64 v[24:25], v[22:23], v[24:25], 0x3f56c16c1852b7b0
	;; [unrolled: 3-line block ×4, first 2 shown]
	v_fma_f64 v[24:25], v[22:23], v[24:25], 1.0
	s_delay_alu instid0(VALU_DEP_1) | instskip(NEXT) | instid1(VALU_DEP_1)
	v_fma_f64 v[22:23], v[22:23], v[24:25], 1.0
	v_ldexp_f64 v[12:13], v[22:23], v11
	s_delay_alu instid0(VALU_DEP_1)
	v_cndmask_b32_e32 v11, 0x7ff00000, v13, vcc_lo
	s_and_b32 vcc_lo, s4, vcc_lo
	s_delay_alu instid0(VALU_DEP_1) | instid1(SALU_CYCLE_1)
	v_dual_cndmask_b32 v2, 0, v12, vcc_lo :: v_dual_cndmask_b32 v3, 0, v11, s4
	s_delay_alu instid0(VALU_DEP_1) | instskip(SKIP_1) | instid1(VALU_DEP_2)
	v_fma_f64 v[4:5], v[2:3], v[4:5], v[2:3]
	v_cmp_class_f64_e64 vcc_lo, v[2:3], 0x204
	v_dual_cndmask_b32 v11, v4, v2 :: v_dual_cndmask_b32 v12, v5, v3
	v_trunc_f64_e32 v[2:3], v[40:41]
	s_delay_alu instid0(VALU_DEP_1) | instskip(SKIP_1) | instid1(VALU_DEP_1)
	v_cmp_eq_f64_e32 vcc_lo, v[2:3], v[40:41]
	v_mul_f64_e32 v[2:3], 0.5, v[40:41]
	v_trunc_f64_e32 v[4:5], v[2:3]
	s_delay_alu instid0(VALU_DEP_1) | instskip(SKIP_2) | instid1(SALU_CYCLE_1)
	v_cmp_neq_f64_e64 s4, v[4:5], v[2:3]
	v_cndmask_b32_e32 v3, 0, v11, vcc_lo
	s_and_b32 s4, vcc_lo, s4
	v_cndmask_b32_e64 v2, 0x3ff00000, v17, s4
	s_delay_alu instid0(VALU_DEP_1) | instskip(NEXT) | instid1(VALU_DEP_1)
	v_bfi_b32 v2, 0x7fffffff, v12, v2
	v_cndmask_b32_e32 v4, 0x7ff80000, v2, vcc_lo
	s_delay_alu instid0(VALU_DEP_1) | instskip(SKIP_1) | instid1(VALU_DEP_2)
	v_dual_cndmask_b32 v4, v2, v4, s1 :: v_dual_cndmask_b32 v2, v11, v3, s1
	v_cndmask_b32_e64 v3, 0, v17, s4
	v_cndmask_b32_e64 v2, v2, 0, s2
	s_delay_alu instid0(VALU_DEP_2) | instskip(NEXT) | instid1(VALU_DEP_1)
	v_bfi_b32 v3, 0x7fffffff, v10, v3
	v_cndmask_b32_e64 v3, v4, v3, s2
	s_delay_alu instid0(VALU_DEP_1) | instskip(NEXT) | instid1(VALU_DEP_1)
	v_div_scale_f64 v[4:5], null, v[2:3], v[2:3], s[50:51]
	v_rcp_f64_e32 v[12:13], v[4:5]
	v_nop
	s_delay_alu instid0(TRANS32_DEP_1) | instskip(NEXT) | instid1(VALU_DEP_1)
	v_fma_f64 v[22:23], -v[4:5], v[12:13], 1.0
	v_fmac_f64_e32 v[12:13], v[12:13], v[22:23]
	s_delay_alu instid0(VALU_DEP_1) | instskip(NEXT) | instid1(VALU_DEP_1)
	v_fma_f64 v[22:23], -v[4:5], v[12:13], 1.0
	v_fmac_f64_e32 v[12:13], v[12:13], v[22:23]
	v_div_scale_f64 v[22:23], vcc_lo, s[50:51], v[2:3], s[50:51]
	s_delay_alu instid0(VALU_DEP_1) | instskip(NEXT) | instid1(VALU_DEP_1)
	v_mul_f64_e32 v[24:25], v[22:23], v[12:13]
	v_fma_f64 v[4:5], -v[4:5], v[24:25], v[22:23]
	s_delay_alu instid0(VALU_DEP_1) | instskip(SKIP_1) | instid1(VALU_DEP_2)
	v_div_fmas_f64 v[4:5], v[4:5], v[12:13], v[24:25]
	v_cmp_gt_f64_e32 vcc_lo, 0x10000000, v[16:17]
	v_div_fixup_f64 v[2:3], v[4:5], v[2:3], s[50:51]
	s_delay_alu instid0(VALU_DEP_1) | instskip(NEXT) | instid1(VALU_DEP_1)
	v_add_f64_e32 v[2:3], 1.0, v[2:3]
	v_cndmask_b32_e64 v32, v2, 0, s3
	v_cndmask_b32_e64 v2, 0, 0x100, vcc_lo
	s_delay_alu instid0(VALU_DEP_3) | instskip(NEXT) | instid1(VALU_DEP_2)
	v_cndmask_b32_e64 v33, v3, 0x7ff80000, s3
	v_ldexp_f64 v[36:37], v[16:17], v2
	s_delay_alu instid0(VALU_DEP_1) | instskip(SKIP_1) | instid1(TRANS32_DEP_1)
	v_rsq_f64_e32 v[2:3], v[36:37]
	v_nop
	v_mul_f64_e32 v[38:39], v[36:37], v[2:3]
	v_mul_f64_e32 v[42:43], 0.5, v[2:3]
	s_delay_alu instid0(VALU_DEP_1) | instskip(NEXT) | instid1(VALU_DEP_1)
	v_fma_f64 v[2:3], -v[42:43], v[38:39], 0.5
	v_fmac_f64_e32 v[38:39], v[38:39], v[2:3]
	v_fmac_f64_e32 v[42:43], v[42:43], v[2:3]
	s_delay_alu instid0(VALU_DEP_2) | instskip(NEXT) | instid1(VALU_DEP_1)
	v_fma_f64 v[4:5], -v[38:39], v[38:39], v[36:37]
	v_fmac_f64_e32 v[38:39], v[4:5], v[42:43]
	s_delay_alu instid0(VALU_DEP_1) | instskip(NEXT) | instid1(VALU_DEP_1)
	v_fma_f64 v[2:3], -v[38:39], v[38:39], v[36:37]
	v_fmac_f64_e32 v[38:39], v[2:3], v[42:43]
	v_cndmask_b32_e64 v2, 0, 0xffffff80, vcc_lo
	v_cmp_class_f64_e64 vcc_lo, v[36:37], 0x260
	s_delay_alu instid0(VALU_DEP_2) | instskip(NEXT) | instid1(VALU_DEP_1)
	v_ldexp_f64 v[2:3], v[38:39], v2
	v_dual_cndmask_b32 v3, v3, v37 :: v_dual_cndmask_b32 v2, v2, v36
	s_delay_alu instid0(VALU_DEP_1) | instskip(NEXT) | instid1(VALU_DEP_1)
	v_div_scale_f64 v[4:5], null, v[2:3], v[2:3], s[52:53]
	v_rcp_f64_e32 v[12:13], v[4:5]
	v_nop
	s_delay_alu instid0(TRANS32_DEP_1) | instskip(NEXT) | instid1(VALU_DEP_1)
	v_fma_f64 v[22:23], -v[4:5], v[12:13], 1.0
	v_fmac_f64_e32 v[12:13], v[12:13], v[22:23]
	s_delay_alu instid0(VALU_DEP_1) | instskip(NEXT) | instid1(VALU_DEP_1)
	v_fma_f64 v[22:23], -v[4:5], v[12:13], 1.0
	v_fmac_f64_e32 v[12:13], v[12:13], v[22:23]
	v_div_scale_f64 v[22:23], vcc_lo, s[52:53], v[2:3], s[52:53]
	s_delay_alu instid0(VALU_DEP_1) | instskip(NEXT) | instid1(VALU_DEP_1)
	v_mul_f64_e32 v[24:25], v[22:23], v[12:13]
	v_fma_f64 v[4:5], -v[4:5], v[24:25], v[22:23]
	s_delay_alu instid0(VALU_DEP_1) | instskip(NEXT) | instid1(VALU_DEP_1)
	v_div_fmas_f64 v[4:5], v[4:5], v[12:13], v[24:25]
	v_div_fixup_f64 v[2:3], v[4:5], v[2:3], s[52:53]
	v_mul_f64_e32 v[4:5], v[20:21], v[6:7]
	s_delay_alu instid0(VALU_DEP_2) | instskip(NEXT) | instid1(VALU_DEP_2)
	v_add_f64_e32 v[2:3], v[2:3], v[32:33]
	v_fma_f64 v[6:7], v[20:21], v[6:7], -v[4:5]
	v_cmp_class_f64_e64 vcc_lo, v[4:5], 0x204
	s_delay_alu instid0(VALU_DEP_3) | instskip(NEXT) | instid1(VALU_DEP_3)
	v_mul_f64_e32 v[2:3], v[34:35], v[2:3]
	v_fmac_f64_e32 v[6:7], v[20:21], v[14:15]
	s_delay_alu instid0(VALU_DEP_1) | instskip(NEXT) | instid1(VALU_DEP_1)
	v_add_f64_e32 v[12:13], v[4:5], v[6:7]
	v_add_f64_e64 v[14:15], v[12:13], -v[4:5]
	v_dual_cndmask_b32 v5, v13, v5 :: v_dual_cndmask_b32 v4, v12, v4
	s_delay_alu instid0(VALU_DEP_1) | instskip(SKIP_3) | instid1(VALU_DEP_4)
	v_mul_f64_e32 v[12:13], 0x3ff71547652b82fe, v[4:5]
	v_cmp_neq_f64_e64 vcc_lo, 0x7ff00000, |v[4:5]|
	v_cmp_ngt_f64_e64 s0, 0xc090cc00, v[4:5]
	v_add_f64_e64 v[6:7], v[6:7], -v[14:15]
	v_rndne_f64_e32 v[12:13], v[12:13]
	s_delay_alu instid0(VALU_DEP_2) | instskip(SKIP_1) | instid1(VALU_DEP_3)
	v_dual_cndmask_b32 v7, 0, v7 :: v_dual_cndmask_b32 v6, 0, v6
	v_cmp_nlt_f64_e32 vcc_lo, 0x40900000, v[4:5]
	v_fmamk_f64 v[14:15], v[12:13], 0xbfe62e42fefa39ef, v[4:5]
	v_cvt_i32_f64_e32 v11, v[12:13]
	s_delay_alu instid0(VALU_DEP_2) | instskip(NEXT) | instid1(VALU_DEP_1)
	v_fmac_f64_e32 v[14:15], 0xbc7abc9e3b39803f, v[12:13]
	v_fmamk_f64 v[22:23], v[14:15], 0x3e5ade156a5dcb37, v[44:45]
	s_delay_alu instid0(VALU_DEP_1) | instskip(NEXT) | instid1(VALU_DEP_1)
	v_fmaak_f64 v[22:23], v[14:15], v[22:23], 0x3ec71dee623fde64
	v_fmaak_f64 v[22:23], v[14:15], v[22:23], 0x3efa01997c89e6b0
	s_delay_alu instid0(VALU_DEP_1) | instskip(NEXT) | instid1(VALU_DEP_1)
	v_fmaak_f64 v[22:23], v[14:15], v[22:23], 0x3f2a01a014761f6e
	v_fmaak_f64 v[22:23], v[14:15], v[22:23], 0x3f56c16c1852b7b0
	s_delay_alu instid0(VALU_DEP_1) | instskip(NEXT) | instid1(VALU_DEP_1)
	v_fmaak_f64 v[22:23], v[14:15], v[22:23], 0x3f81111111122322
	v_fmaak_f64 v[22:23], v[14:15], v[22:23], 0x3fa55555555502a1
	s_delay_alu instid0(VALU_DEP_1) | instskip(NEXT) | instid1(VALU_DEP_1)
	v_fmaak_f64 v[22:23], v[14:15], v[22:23], 0x3fc5555555555511
	v_fmaak_f64 v[22:23], v[14:15], v[22:23], 0x3fe000000000000b
	s_delay_alu instid0(VALU_DEP_1) | instskip(NEXT) | instid1(VALU_DEP_1)
	v_fma_f64 v[22:23], v[14:15], v[22:23], 1.0
	v_fma_f64 v[14:15], v[14:15], v[22:23], 1.0
	s_delay_alu instid0(VALU_DEP_1) | instskip(NEXT) | instid1(VALU_DEP_1)
	v_ldexp_f64 v[12:13], v[14:15], v11
	v_cndmask_b32_e32 v11, 0x7ff00000, v13, vcc_lo
	s_and_b32 vcc_lo, s0, vcc_lo
	s_delay_alu instid0(VALU_DEP_1) | instid1(SALU_CYCLE_1)
	v_dual_cndmask_b32 v4, 0, v12, vcc_lo :: v_dual_cndmask_b32 v5, 0, v11, s0
	s_delay_alu instid0(VALU_DEP_1) | instskip(SKIP_1) | instid1(VALU_DEP_2)
	v_fma_f64 v[6:7], v[4:5], v[6:7], v[4:5]
	v_cmp_class_f64_e64 vcc_lo, v[4:5], 0x204
	v_dual_cndmask_b32 v11, v6, v4 :: v_dual_cndmask_b32 v12, v7, v5
	v_trunc_f64_e32 v[4:5], v[20:21]
	s_delay_alu instid0(VALU_DEP_1) | instskip(SKIP_1) | instid1(VALU_DEP_1)
	v_cmp_eq_f64_e32 vcc_lo, v[4:5], v[20:21]
	v_mul_f64_e32 v[4:5], 0.5, v[20:21]
	v_trunc_f64_e32 v[6:7], v[4:5]
	s_delay_alu instid0(VALU_DEP_1) | instskip(SKIP_2) | instid1(SALU_CYCLE_1)
	v_cmp_neq_f64_e64 s0, v[6:7], v[4:5]
	v_cndmask_b32_e32 v5, 0, v11, vcc_lo
	s_and_b32 s0, vcc_lo, s0
	v_cndmask_b32_e64 v4, 0x3ff00000, v17, s0
	s_delay_alu instid0(VALU_DEP_1) | instskip(NEXT) | instid1(VALU_DEP_1)
	v_bfi_b32 v4, 0x7fffffff, v12, v4
	v_cndmask_b32_e32 v6, 0x7ff80000, v4, vcc_lo
	s_delay_alu instid0(VALU_DEP_1) | instskip(SKIP_2) | instid1(VALU_DEP_3)
	v_dual_cndmask_b32 v6, v4, v6, s1 :: v_dual_cndmask_b32 v4, v11, v5, s1
	v_cndmask_b32_e64 v5, 0, v17, s0
	v_div_scale_f64 v[16:17], null, s[40:41], s[40:41], v[0:1]
	v_cndmask_b32_e64 v4, v4, 0, s2
	s_delay_alu instid0(VALU_DEP_3) | instskip(NEXT) | instid1(VALU_DEP_1)
	v_bfi_b32 v5, 0x7fffffff, v10, v5
	v_cndmask_b32_e64 v5, v6, v5, s2
	s_delay_alu instid0(VALU_DEP_1) | instskip(SKIP_1) | instid1(VALU_DEP_1)
	v_mul_f64_e32 v[4:5], 0xbffe3d07c84b5dcc, v[4:5]
	v_rcp_f64_e32 v[14:15], v[16:17]
	v_cndmask_b32_e64 v5, v5, 0x7ff80000, s3
	s_delay_alu instid0(VALU_DEP_2) | instskip(NEXT) | instid1(VALU_DEP_1)
	v_cndmask_b32_e64 v4, v4, 0, s3
	v_mul_f64_e32 v[6:7], 0x3ff71547652b82fe, v[4:5]
	v_cmp_nlt_f64_e32 vcc_lo, 0x40900000, v[4:5]
	v_cmp_ngt_f64_e64 s0, 0xc090cc00, v[4:5]
	s_delay_alu instid0(VALU_DEP_3) | instskip(NEXT) | instid1(VALU_DEP_1)
	v_rndne_f64_e32 v[6:7], v[6:7]
	v_fmamk_f64 v[10:11], v[6:7], 0xbfe62e42fefa39ef, v[4:5]
	s_delay_alu instid0(VALU_DEP_1) | instskip(SKIP_1) | instid1(VALU_DEP_2)
	v_fmac_f64_e32 v[10:11], 0xbc7abc9e3b39803f, v[6:7]
	v_cvt_i32_f64_e32 v6, v[6:7]
	v_fmamk_f64 v[12:13], v[10:11], 0x3e5ade156a5dcb37, v[44:45]
	s_delay_alu instid0(VALU_DEP_1) | instskip(NEXT) | instid1(VALU_DEP_1)
	v_fmaak_f64 v[12:13], v[10:11], v[12:13], 0x3ec71dee623fde64
	v_fmaak_f64 v[12:13], v[10:11], v[12:13], 0x3efa01997c89e6b0
	s_delay_alu instid0(VALU_DEP_1) | instskip(NEXT) | instid1(VALU_DEP_1)
	v_fmaak_f64 v[12:13], v[10:11], v[12:13], 0x3f2a01a014761f6e
	v_fmaak_f64 v[12:13], v[10:11], v[12:13], 0x3f56c16c1852b7b0
	;; [unrolled: 3-line block ×4, first 2 shown]
	s_delay_alu instid0(VALU_DEP_1) | instskip(NEXT) | instid1(VALU_DEP_1)
	v_fma_f64 v[12:13], v[10:11], v[12:13], 1.0
	v_fma_f64 v[10:11], v[10:11], v[12:13], 1.0
	s_delay_alu instid0(VALU_DEP_1) | instskip(NEXT) | instid1(VALU_DEP_1)
	v_ldexp_f64 v[6:7], v[10:11], v6
	v_cndmask_b32_e32 v7, 0x7ff00000, v7, vcc_lo
	s_and_b32 vcc_lo, s0, vcc_lo
	s_delay_alu instid0(VALU_DEP_1) | instid1(SALU_CYCLE_1)
	v_dual_cndmask_b32 v4, 0, v6, vcc_lo :: v_dual_cndmask_b32 v5, 0, v7, s0
	s_delay_alu instid0(VALU_DEP_1) | instskip(NEXT) | instid1(VALU_DEP_1)
	v_mul_f64_e32 v[2:3], v[2:3], v[4:5]
	v_mul_f64_e32 v[6:7], v[2:3], v[18:19]
	s_delay_alu instid0(TRANS32_DEP_1) | instskip(NEXT) | instid1(VALU_DEP_1)
	v_fma_f64 v[2:3], -v[16:17], v[14:15], 1.0
	v_fmac_f64_e32 v[14:15], v[14:15], v[2:3]
	s_delay_alu instid0(VALU_DEP_1) | instskip(NEXT) | instid1(VALU_DEP_1)
	v_fma_f64 v[2:3], -v[16:17], v[14:15], 1.0
	v_fmac_f64_e32 v[14:15], v[14:15], v[2:3]
	v_div_scale_f64 v[2:3], vcc_lo, v[0:1], s[40:41], v[0:1]
	s_delay_alu instid0(VALU_DEP_1) | instskip(NEXT) | instid1(VALU_DEP_1)
	v_mul_f64_e32 v[4:5], v[2:3], v[14:15]
	v_fma_f64 v[2:3], -v[16:17], v[4:5], v[2:3]
	s_delay_alu instid0(VALU_DEP_1) | instskip(NEXT) | instid1(VALU_DEP_1)
	v_div_fmas_f64 v[2:3], v[2:3], v[14:15], v[4:5]
	v_div_fixup_f64 v[0:1], v[2:3], s[40:41], v[0:1]
	s_delay_alu instid0(VALU_DEP_1) | instskip(NEXT) | instid1(VALU_DEP_1)
	v_div_scale_f64 v[2:3], null, s[40:41], s[40:41], v[0:1]
	v_rcp_f64_e32 v[4:5], v[2:3]
	v_nop
	s_delay_alu instid0(TRANS32_DEP_1) | instskip(NEXT) | instid1(VALU_DEP_1)
	v_fma_f64 v[10:11], -v[2:3], v[4:5], 1.0
	v_fmac_f64_e32 v[4:5], v[4:5], v[10:11]
	s_delay_alu instid0(VALU_DEP_1) | instskip(NEXT) | instid1(VALU_DEP_1)
	v_fma_f64 v[10:11], -v[2:3], v[4:5], 1.0
	v_fmac_f64_e32 v[4:5], v[4:5], v[10:11]
	v_div_scale_f64 v[10:11], vcc_lo, v[0:1], s[40:41], v[0:1]
	s_delay_alu instid0(VALU_DEP_1) | instskip(NEXT) | instid1(VALU_DEP_1)
	v_mul_f64_e32 v[12:13], v[10:11], v[4:5]
	v_fma_f64 v[2:3], -v[2:3], v[12:13], v[10:11]
	s_delay_alu instid0(VALU_DEP_1) | instskip(NEXT) | instid1(VALU_DEP_1)
	v_div_fmas_f64 v[2:3], v[2:3], v[4:5], v[12:13]
	v_div_fixup_f64 v[0:1], v[2:3], s[40:41], v[0:1]
	v_mul_f64_e32 v[2:3], 0x3a8067c6380646ba, v[54:55]
	s_delay_alu instid0(VALU_DEP_1) | instskip(NEXT) | instid1(VALU_DEP_1)
	v_div_scale_f64 v[4:5], null, s[36:37], s[36:37], v[2:3]
	v_rcp_f64_e32 v[10:11], v[4:5]
	v_nop
	s_delay_alu instid0(TRANS32_DEP_1) | instskip(NEXT) | instid1(VALU_DEP_1)
	v_fma_f64 v[12:13], -v[4:5], v[10:11], 1.0
	v_fmac_f64_e32 v[10:11], v[10:11], v[12:13]
	s_delay_alu instid0(VALU_DEP_1) | instskip(NEXT) | instid1(VALU_DEP_1)
	v_fma_f64 v[12:13], -v[4:5], v[10:11], 1.0
	v_fmac_f64_e32 v[10:11], v[10:11], v[12:13]
	v_div_scale_f64 v[12:13], vcc_lo, v[2:3], s[36:37], v[2:3]
	s_delay_alu instid0(VALU_DEP_1) | instskip(NEXT) | instid1(VALU_DEP_1)
	v_mul_f64_e32 v[14:15], v[12:13], v[10:11]
	v_fma_f64 v[4:5], -v[4:5], v[14:15], v[12:13]
	s_delay_alu instid0(VALU_DEP_1) | instskip(NEXT) | instid1(VALU_DEP_1)
	v_div_fmas_f64 v[4:5], v[4:5], v[10:11], v[14:15]
	v_div_fixup_f64 v[2:3], v[4:5], s[36:37], v[2:3]
	s_delay_alu instid0(VALU_DEP_1) | instskip(NEXT) | instid1(VALU_DEP_1)
	v_div_scale_f64 v[4:5], null, v[50:51], v[50:51], v[2:3]
	v_rcp_f64_e32 v[10:11], v[4:5]
	v_nop
	s_delay_alu instid0(TRANS32_DEP_1) | instskip(NEXT) | instid1(VALU_DEP_1)
	v_fma_f64 v[12:13], -v[4:5], v[10:11], 1.0
	v_fmac_f64_e32 v[10:11], v[10:11], v[12:13]
	s_delay_alu instid0(VALU_DEP_1) | instskip(NEXT) | instid1(VALU_DEP_1)
	v_fma_f64 v[12:13], -v[4:5], v[10:11], 1.0
	v_fmac_f64_e32 v[10:11], v[10:11], v[12:13]
	v_div_scale_f64 v[12:13], vcc_lo, v[2:3], v[50:51], v[2:3]
	s_delay_alu instid0(VALU_DEP_1) | instskip(NEXT) | instid1(VALU_DEP_1)
	v_mul_f64_e32 v[14:15], v[12:13], v[10:11]
	v_fma_f64 v[4:5], -v[4:5], v[14:15], v[12:13]
	s_delay_alu instid0(VALU_DEP_1) | instskip(NEXT) | instid1(VALU_DEP_1)
	v_div_fmas_f64 v[4:5], v[4:5], v[10:11], v[14:15]
	v_div_fixup_f64 v[14:15], v[4:5], v[50:51], v[2:3]
	s_delay_alu instid0(VALU_DEP_1) | instskip(SKIP_2) | instid1(VALU_DEP_3)
	v_mul_f64_e32 v[2:3], 0x3ff71547652b82fe, v[14:15]
	v_cmp_nlt_f64_e32 vcc_lo, 0x40900000, v[14:15]
	v_cmp_ngt_f64_e64 s0, 0xc090cc00, v[14:15]
	v_rndne_f64_e32 v[2:3], v[2:3]
	s_delay_alu instid0(VALU_DEP_1) | instskip(NEXT) | instid1(VALU_DEP_1)
	v_fmamk_f64 v[4:5], v[2:3], 0xbfe62e42fefa39ef, v[14:15]
	v_fmac_f64_e32 v[4:5], 0xbc7abc9e3b39803f, v[2:3]
	v_cvt_i32_f64_e32 v2, v[2:3]
	s_delay_alu instid0(VALU_DEP_2) | instskip(NEXT) | instid1(VALU_DEP_1)
	v_fmamk_f64 v[10:11], v[4:5], 0x3e5ade156a5dcb37, v[44:45]
	v_fmaak_f64 v[10:11], v[4:5], v[10:11], 0x3ec71dee623fde64
	s_delay_alu instid0(VALU_DEP_1) | instskip(NEXT) | instid1(VALU_DEP_1)
	v_fmaak_f64 v[10:11], v[4:5], v[10:11], 0x3efa01997c89e6b0
	v_fmaak_f64 v[10:11], v[4:5], v[10:11], 0x3f2a01a014761f6e
	s_delay_alu instid0(VALU_DEP_1) | instskip(NEXT) | instid1(VALU_DEP_1)
	v_fmaak_f64 v[10:11], v[4:5], v[10:11], 0x3f56c16c1852b7b0
	;; [unrolled: 3-line block ×4, first 2 shown]
	v_fma_f64 v[10:11], v[4:5], v[10:11], 1.0
	s_delay_alu instid0(VALU_DEP_1) | instskip(NEXT) | instid1(VALU_DEP_1)
	v_fma_f64 v[4:5], v[4:5], v[10:11], 1.0
	v_ldexp_f64 v[2:3], v[4:5], v2
	s_delay_alu instid0(VALU_DEP_1) | instskip(NEXT) | instid1(VALU_DEP_1)
	v_add_f64_e32 v[2:3], -1.0, v[2:3]
	v_cndmask_b32_e32 v3, 0x7ff00000, v3, vcc_lo
	s_and_b32 vcc_lo, s0, vcc_lo
	s_delay_alu instid0(VALU_DEP_2) | instskip(NEXT) | instid1(VALU_DEP_2)
	v_cndmask_b32_e32 v14, 0, v2, vcc_lo
	v_cndmask_b32_e64 v15, 0xbff00000, v3, s0
	s_delay_alu instid0(VALU_DEP_1) | instskip(NEXT) | instid1(VALU_DEP_1)
	v_div_scale_f64 v[2:3], null, v[14:15], v[14:15], v[0:1]
	v_rcp_f64_e32 v[4:5], v[2:3]
	v_nop
	s_delay_alu instid0(TRANS32_DEP_1) | instskip(NEXT) | instid1(VALU_DEP_1)
	v_fma_f64 v[10:11], -v[2:3], v[4:5], 1.0
	v_fmac_f64_e32 v[4:5], v[4:5], v[10:11]
	s_delay_alu instid0(VALU_DEP_1) | instskip(NEXT) | instid1(VALU_DEP_1)
	v_fma_f64 v[10:11], -v[2:3], v[4:5], 1.0
	v_fmac_f64_e32 v[4:5], v[4:5], v[10:11]
	v_div_scale_f64 v[10:11], vcc_lo, v[0:1], v[14:15], v[0:1]
	s_delay_alu instid0(VALU_DEP_1) | instskip(NEXT) | instid1(VALU_DEP_1)
	v_mul_f64_e32 v[12:13], v[10:11], v[4:5]
	v_fma_f64 v[2:3], -v[2:3], v[12:13], v[10:11]
	s_delay_alu instid0(VALU_DEP_1) | instskip(NEXT) | instid1(VALU_DEP_1)
	v_div_fmas_f64 v[2:3], v[2:3], v[4:5], v[12:13]
	v_div_fixup_f64 v[2:3], v[2:3], v[14:15], v[0:1]
	scratch_load_b64 v[0:1], off, off offset:144 th:TH_LOAD_LU ; 8-byte Folded Reload
	s_wait_loadcnt 0x0
	v_mul_f64_e32 v[0:1], 0x41506738, v[0:1]
	s_delay_alu instid0(VALU_DEP_1) | instskip(NEXT) | instid1(VALU_DEP_1)
	v_mul_f64_e32 v[0:1], 0x410208e0, v[0:1]
	v_mul_f64_e32 v[0:1], v[0:1], v[6:7]
	s_delay_alu instid0(VALU_DEP_1) | instskip(NEXT) | instid1(VALU_DEP_1)
	v_div_scale_f64 v[4:5], null, v[2:3], v[2:3], v[0:1]
	v_rcp_f64_e32 v[6:7], v[4:5]
	v_nop
	s_delay_alu instid0(TRANS32_DEP_1) | instskip(NEXT) | instid1(VALU_DEP_1)
	v_fma_f64 v[10:11], -v[4:5], v[6:7], 1.0
	v_fmac_f64_e32 v[6:7], v[6:7], v[10:11]
	s_delay_alu instid0(VALU_DEP_1) | instskip(NEXT) | instid1(VALU_DEP_1)
	v_fma_f64 v[10:11], -v[4:5], v[6:7], 1.0
	v_fmac_f64_e32 v[6:7], v[6:7], v[10:11]
	v_div_scale_f64 v[10:11], vcc_lo, v[0:1], v[2:3], v[0:1]
	s_delay_alu instid0(VALU_DEP_1) | instskip(NEXT) | instid1(VALU_DEP_1)
	v_mul_f64_e32 v[12:13], v[10:11], v[6:7]
	v_fma_f64 v[4:5], -v[4:5], v[12:13], v[10:11]
	s_delay_alu instid0(VALU_DEP_1) | instskip(SKIP_3) | instid1(VALU_DEP_1)
	v_div_fmas_f64 v[4:5], v[4:5], v[6:7], v[12:13]
	scratch_load_b64 v[12:13], off, off offset:184 th:TH_LOAD_LU ; 8-byte Folded Reload
	v_div_fixup_f64 v[2:3], v[4:5], v[2:3], v[0:1]
	s_wait_loadcnt 0x0
	v_fma_f64 v[12:13], -v[52:53], v[2:3], v[12:13]
	v_div_scale_f64 v[2:3], null, v[54:55], v[54:55], v[0:1]
	s_delay_alu instid0(VALU_DEP_2) | instskip(NEXT) | instid1(VALU_DEP_2)
	v_cmp_nlt_f64_e64 s0, 0x4090cc00, v[12:13]
	v_rcp_f64_e32 v[4:5], v[2:3]
	scratch_store_b64 off, v[12:13], off offset:184 ; 8-byte Folded Spill
	v_nop
	v_fma_f64 v[6:7], -v[2:3], v[4:5], 1.0
	s_delay_alu instid0(VALU_DEP_1) | instskip(NEXT) | instid1(VALU_DEP_1)
	v_fmac_f64_e32 v[4:5], v[4:5], v[6:7]
	v_fma_f64 v[6:7], -v[2:3], v[4:5], 1.0
	s_delay_alu instid0(VALU_DEP_1) | instskip(SKIP_1) | instid1(VALU_DEP_1)
	v_fmac_f64_e32 v[4:5], v[4:5], v[6:7]
	v_div_scale_f64 v[6:7], vcc_lo, v[0:1], v[54:55], v[0:1]
	v_mul_f64_e32 v[10:11], v[6:7], v[4:5]
	s_delay_alu instid0(VALU_DEP_1) | instskip(NEXT) | instid1(VALU_DEP_1)
	v_fma_f64 v[2:3], -v[2:3], v[10:11], v[6:7]
	v_div_fmas_f64 v[2:3], v[2:3], v[4:5], v[10:11]
	s_delay_alu instid0(VALU_DEP_1) | instskip(NEXT) | instid1(VALU_DEP_1)
	v_div_fixup_f64 v[0:1], v[2:3], v[54:55], v[0:1]
	v_div_scale_f64 v[2:3], null, v[54:55], v[54:55], v[0:1]
	s_delay_alu instid0(VALU_DEP_1) | instskip(SKIP_1) | instid1(TRANS32_DEP_1)
	v_rcp_f64_e32 v[4:5], v[2:3]
	v_nop
	v_fma_f64 v[6:7], -v[2:3], v[4:5], 1.0
	s_delay_alu instid0(VALU_DEP_1) | instskip(NEXT) | instid1(VALU_DEP_1)
	v_fmac_f64_e32 v[4:5], v[4:5], v[6:7]
	v_fma_f64 v[6:7], -v[2:3], v[4:5], 1.0
	s_delay_alu instid0(VALU_DEP_1) | instskip(SKIP_1) | instid1(VALU_DEP_1)
	v_fmac_f64_e32 v[4:5], v[4:5], v[6:7]
	v_div_scale_f64 v[6:7], vcc_lo, v[0:1], v[54:55], v[0:1]
	v_mul_f64_e32 v[10:11], v[6:7], v[4:5]
	s_delay_alu instid0(VALU_DEP_1) | instskip(NEXT) | instid1(VALU_DEP_1)
	v_fma_f64 v[2:3], -v[2:3], v[10:11], v[6:7]
	v_div_fmas_f64 v[2:3], v[2:3], v[4:5], v[10:11]
	s_delay_alu instid0(VALU_DEP_1) | instskip(NEXT) | instid1(VALU_DEP_1)
	v_div_fixup_f64 v[0:1], v[2:3], v[54:55], v[0:1]
	v_div_scale_f64 v[2:3], null, v[54:55], v[54:55], v[0:1]
	s_delay_alu instid0(VALU_DEP_1) | instskip(SKIP_1) | instid1(TRANS32_DEP_1)
	v_rcp_f64_e32 v[4:5], v[2:3]
	v_nop
	v_fma_f64 v[6:7], -v[2:3], v[4:5], 1.0
	s_delay_alu instid0(VALU_DEP_1) | instskip(NEXT) | instid1(VALU_DEP_1)
	v_fmac_f64_e32 v[4:5], v[4:5], v[6:7]
	v_fma_f64 v[6:7], -v[2:3], v[4:5], 1.0
	s_delay_alu instid0(VALU_DEP_1) | instskip(SKIP_1) | instid1(VALU_DEP_1)
	v_fmac_f64_e32 v[4:5], v[4:5], v[6:7]
	v_div_scale_f64 v[6:7], vcc_lo, v[0:1], v[54:55], v[0:1]
	v_mul_f64_e32 v[10:11], v[6:7], v[4:5]
	s_delay_alu instid0(VALU_DEP_1) | instskip(NEXT) | instid1(VALU_DEP_1)
	v_fma_f64 v[2:3], -v[2:3], v[10:11], v[6:7]
	v_div_fmas_f64 v[2:3], v[2:3], v[4:5], v[10:11]
	v_cmp_ngt_f64_e32 vcc_lo, 0xc0900000, v[12:13]
	s_delay_alu instid0(VALU_DEP_2) | instskip(SKIP_1) | instid1(VALU_DEP_1)
	v_div_fixup_f64 v[0:1], v[2:3], v[54:55], v[0:1]
	v_mul_f64_e32 v[2:3], 0xbff71547652b82fe, v[12:13]
	v_rndne_f64_e32 v[2:3], v[2:3]
	s_delay_alu instid0(VALU_DEP_1) | instskip(NEXT) | instid1(VALU_DEP_1)
	v_fma_f64 v[4:5], v[2:3], s[18:19], -v[12:13]
	v_fmac_f64_e32 v[4:5], 0xbc7abc9e3b39803f, v[2:3]
	v_cvt_i32_f64_e32 v2, v[2:3]
	s_delay_alu instid0(VALU_DEP_2) | instskip(NEXT) | instid1(VALU_DEP_1)
	v_fmamk_f64 v[6:7], v[4:5], 0x3e5ade156a5dcb37, v[44:45]
	v_fmaak_f64 v[6:7], v[4:5], v[6:7], 0x3ec71dee623fde64
	s_delay_alu instid0(VALU_DEP_1) | instskip(NEXT) | instid1(VALU_DEP_1)
	v_fmaak_f64 v[6:7], v[4:5], v[6:7], 0x3efa01997c89e6b0
	v_fmaak_f64 v[6:7], v[4:5], v[6:7], 0x3f2a01a014761f6e
	s_delay_alu instid0(VALU_DEP_1) | instskip(NEXT) | instid1(VALU_DEP_1)
	v_fmaak_f64 v[6:7], v[4:5], v[6:7], 0x3f56c16c1852b7b0
	;; [unrolled: 3-line block ×4, first 2 shown]
	v_fma_f64 v[6:7], v[4:5], v[6:7], 1.0
	s_delay_alu instid0(VALU_DEP_1) | instskip(NEXT) | instid1(VALU_DEP_1)
	v_fma_f64 v[4:5], v[4:5], v[6:7], 1.0
	v_ldexp_f64 v[2:3], v[4:5], v2
	s_delay_alu instid0(VALU_DEP_1)
	v_cndmask_b32_e32 v3, 0x7ff00000, v3, vcc_lo
	s_and_b32 vcc_lo, s0, vcc_lo
	s_delay_alu instid0(VALU_DEP_1) | instid1(SALU_CYCLE_1)
	v_dual_cndmask_b32 v2, 0, v2, vcc_lo :: v_dual_cndmask_b32 v3, 0, v3, s0
	s_xor_b32 s0, exec_lo, -1
	s_delay_alu instid0(VALU_DEP_1)
	v_mul_f64_e32 v[0:1], v[0:1], v[2:3]
	scratch_load_b64 v[2:3], off, off offset:176 ; 8-byte Folded Reload
	s_wait_loadcnt 0x0
	v_fma_f64 v[50:51], -v[52:53], v[0:1], v[2:3]
.LBB1_78:                               ;   in Loop: Header=BB1_79 Depth=1
	s_wait_xcnt 0x0
	s_or_b32 exec_lo, exec_lo, s33
	s_delay_alu instid0(SALU_CYCLE_1) | instskip(NEXT) | instid1(SALU_CYCLE_1)
	s_and_b32 s0, exec_lo, s0
	s_or_b32 s5, s0, s5
	s_delay_alu instid0(SALU_CYCLE_1)
	s_and_not1_b32 exec_lo, exec_lo, s5
	s_cbranch_execz .LBB1_174
.LBB1_79:                               ; =>This Loop Header: Depth=1
                                        ;     Child Loop BB1_81 Depth 2
                                        ;       Child Loop BB1_93 Depth 3
	s_mov_b32 s4, 0
	scratch_store_b64 off, v[50:51], off offset:176 ; 8-byte Folded Spill
                                        ; implicit-def: $sgpr3
	s_branch .LBB1_81
.LBB1_80:                               ;   in Loop: Header=BB1_81 Depth=2
	s_wait_xcnt 0x0
	s_or_b32 exec_lo, exec_lo, s0
	s_xor_b32 s0, s1, -1
	s_and_b32 s1, exec_lo, s2
	s_delay_alu instid0(SALU_CYCLE_1) | instskip(SKIP_2) | instid1(SALU_CYCLE_1)
	s_or_b32 s4, s1, s4
	s_and_not1_b32 s1, s3, exec_lo
	s_and_b32 s0, s0, exec_lo
	s_or_b32 s3, s1, s0
	s_and_not1_b32 exec_lo, exec_lo, s4
	s_cbranch_execz .LBB1_147
.LBB1_81:                               ;   Parent Loop BB1_79 Depth=1
                                        ; =>  This Loop Header: Depth=2
                                        ;       Child Loop BB1_93 Depth 3
	v_cmp_ngt_f64_e64 s0, 0x41d00000, |v[92:93]|
	v_trig_preop_f64 v[18:19], |v[92:93]|, 0
	v_trig_preop_f64 v[16:17], |v[92:93]|, 1
	v_ldexp_f64 v[20:21], |v[92:93]|, 0xffffff80
	v_trig_preop_f64 v[14:15], |v[92:93]|, 2
	v_and_b32_e32 v11, 0x7fffffff, v93
	scratch_store_b64 off, v[56:57], off offset:144 ; 8-byte Folded Spill
                                        ; implicit-def: $vgpr10
                                        ; implicit-def: $vgpr0_vgpr1
                                        ; implicit-def: $vgpr6_vgpr7
	s_wait_xcnt 0x0
	s_and_saveexec_b32 s1, s0
	s_delay_alu instid0(SALU_CYCLE_1)
	s_xor_b32 s1, exec_lo, s1
	s_cbranch_execz .LBB1_83
; %bb.82:                               ;   in Loop: Header=BB1_81 Depth=2
	v_cmp_le_f64_e64 vcc_lo, 0x7b000000, |v[92:93]|
	v_dual_cndmask_b32 v1, v11, v21 :: v_dual_cndmask_b32 v0, v92, v20
	s_delay_alu instid0(VALU_DEP_1) | instskip(SKIP_2) | instid1(VALU_DEP_3)
	v_mul_f64_e32 v[6:7], v[18:19], v[0:1]
	v_mul_f64_e32 v[32:33], v[16:17], v[0:1]
	;; [unrolled: 1-line block ×3, first 2 shown]
	v_fma_f64 v[34:35], v[18:19], v[0:1], -v[6:7]
	s_delay_alu instid0(VALU_DEP_3) | instskip(NEXT) | instid1(VALU_DEP_3)
	v_fma_f64 v[48:49], v[16:17], v[0:1], -v[32:33]
	v_fma_f64 v[0:1], v[14:15], v[0:1], -v[46:47]
	s_delay_alu instid0(VALU_DEP_3) | instskip(NEXT) | instid1(VALU_DEP_1)
	v_add_f64_e32 v[36:37], v[32:33], v[34:35]
	v_add_f64_e64 v[38:39], v[36:37], -v[32:33]
	v_add_f64_e32 v[44:45], v[6:7], v[36:37]
	s_delay_alu instid0(VALU_DEP_2) | instskip(SKIP_1) | instid1(VALU_DEP_3)
	v_add_f64_e64 v[42:43], v[36:37], -v[38:39]
	v_add_f64_e64 v[34:35], v[34:35], -v[38:39]
	v_ldexp_f64 v[38:39], v[44:45], -2
	s_delay_alu instid0(VALU_DEP_3) | instskip(SKIP_1) | instid1(VALU_DEP_3)
	v_add_f64_e64 v[32:33], v[32:33], -v[42:43]
	v_add_f64_e32 v[42:43], v[46:47], v[48:49]
	v_cmp_neq_f64_e64 vcc_lo, 0x7ff00000, |v[38:39]|
	s_delay_alu instid0(VALU_DEP_3) | instskip(SKIP_1) | instid1(VALU_DEP_1)
	v_add_f64_e32 v[32:33], v[34:35], v[32:33]
	v_fract_f64_e32 v[34:35], v[38:39]
	v_ldexp_f64 v[34:35], v[34:35], 2
	s_delay_alu instid0(VALU_DEP_1) | instskip(SKIP_1) | instid1(VALU_DEP_3)
	v_cndmask_b32_e32 v35, 0, v35, vcc_lo
	v_add_f64_e64 v[6:7], v[44:45], -v[6:7]
	v_cndmask_b32_e32 v34, 0, v34, vcc_lo
	s_delay_alu instid0(VALU_DEP_2) | instskip(SKIP_1) | instid1(VALU_DEP_1)
	v_add_f64_e64 v[6:7], v[36:37], -v[6:7]
	v_add_f64_e32 v[36:37], v[42:43], v[32:33]
	v_add_f64_e32 v[38:39], v[6:7], v[36:37]
	v_add_f64_e64 v[50:51], v[36:37], -v[42:43]
	s_delay_alu instid0(VALU_DEP_2) | instskip(NEXT) | instid1(VALU_DEP_2)
	v_add_f64_e32 v[44:45], v[38:39], v[34:35]
	v_add_f64_e64 v[56:57], v[36:37], -v[50:51]
	v_add_f64_e64 v[32:33], v[32:33], -v[50:51]
	;; [unrolled: 1-line block ×3, first 2 shown]
	s_delay_alu instid0(VALU_DEP_4) | instskip(SKIP_1) | instid1(VALU_DEP_3)
	v_cmp_gt_f64_e32 vcc_lo, 0, v[44:45]
	v_add_f64_e64 v[44:45], v[42:43], -v[46:47]
	v_add_f64_e64 v[6:7], v[36:37], -v[6:7]
	v_cndmask_b32_e64 v41, 0, 0x40100000, vcc_lo
	s_delay_alu instid0(VALU_DEP_3) | instskip(SKIP_2) | instid1(VALU_DEP_4)
	v_add_f64_e64 v[54:55], v[42:43], -v[44:45]
	v_add_f64_e64 v[44:45], v[48:49], -v[44:45]
	;; [unrolled: 1-line block ×3, first 2 shown]
	v_add_f64_e32 v[34:35], v[34:35], v[40:41]
	s_delay_alu instid0(VALU_DEP_4) | instskip(NEXT) | instid1(VALU_DEP_3)
	v_add_f64_e64 v[48:49], v[46:47], -v[54:55]
	v_add_f64_e32 v[32:33], v[32:33], v[42:43]
	s_delay_alu instid0(VALU_DEP_3) | instskip(NEXT) | instid1(VALU_DEP_3)
	v_add_f64_e32 v[52:53], v[38:39], v[34:35]
	v_add_f64_e32 v[44:45], v[44:45], v[48:49]
	s_delay_alu instid0(VALU_DEP_2) | instskip(NEXT) | instid1(VALU_DEP_2)
	v_cvt_i32_f64_e32 v2, v[52:53]
	v_add_f64_e32 v[32:33], v[44:45], v[32:33]
	s_delay_alu instid0(VALU_DEP_2) | instskip(NEXT) | instid1(VALU_DEP_2)
	v_cvt_f64_i32_e32 v[50:51], v2
	v_add_f64_e32 v[0:1], v[0:1], v[32:33]
	s_delay_alu instid0(VALU_DEP_2) | instskip(NEXT) | instid1(VALU_DEP_2)
	v_add_f64_e64 v[34:35], v[34:35], -v[50:51]
	v_add_f64_e32 v[0:1], v[6:7], v[0:1]
	s_delay_alu instid0(VALU_DEP_2) | instskip(NEXT) | instid1(VALU_DEP_1)
	v_add_f64_e32 v[42:43], v[38:39], v[34:35]
	v_add_f64_e64 v[32:33], v[42:43], -v[34:35]
	v_cmp_le_f64_e32 vcc_lo, 0.5, v[42:43]
	s_delay_alu instid0(VALU_DEP_2) | instskip(SKIP_2) | instid1(VALU_DEP_3)
	v_add_f64_e64 v[6:7], v[38:39], -v[32:33]
	v_cndmask_b32_e64 v41, 0, 0x3ff00000, vcc_lo
	v_add_co_ci_u32_e64 v10, null, 0, v2, vcc_lo
	v_add_f64_e32 v[0:1], v[0:1], v[6:7]
	s_delay_alu instid0(VALU_DEP_3) | instskip(NEXT) | instid1(VALU_DEP_1)
	v_add_f64_e64 v[6:7], v[42:43], -v[40:41]
	v_add_f64_e32 v[32:33], v[6:7], v[0:1]
	s_delay_alu instid0(VALU_DEP_1) | instskip(SKIP_1) | instid1(VALU_DEP_2)
	v_mul_f64_e32 v[34:35], 0x3ff921fb54442d18, v[32:33]
	v_add_f64_e64 v[6:7], v[32:33], -v[6:7]
	v_fma_f64 v[36:37], v[32:33], s[20:21], -v[34:35]
	s_delay_alu instid0(VALU_DEP_2) | instskip(NEXT) | instid1(VALU_DEP_2)
	v_add_f64_e64 v[0:1], v[0:1], -v[6:7]
	v_fmac_f64_e32 v[36:37], 0x3c91a62633145c07, v[32:33]
	s_delay_alu instid0(VALU_DEP_1) | instskip(NEXT) | instid1(VALU_DEP_1)
	v_fmac_f64_e32 v[36:37], 0x3ff921fb54442d18, v[0:1]
	v_add_f64_e32 v[0:1], v[34:35], v[36:37]
	s_delay_alu instid0(VALU_DEP_1) | instskip(NEXT) | instid1(VALU_DEP_1)
	v_add_f64_e64 v[6:7], v[0:1], -v[34:35]
	v_add_f64_e64 v[6:7], v[36:37], -v[6:7]
.LBB1_83:                               ;   in Loop: Header=BB1_81 Depth=2
	s_or_saveexec_b32 s1, s1
	v_mul_f64_e64 v[32:33], |v[92:93]|, s[22:23]
	s_delay_alu instid0(VALU_DEP_1)
	v_rndne_f64_e32 v[36:37], v[32:33]
	s_xor_b32 exec_lo, exec_lo, s1
	s_cbranch_execz .LBB1_85
; %bb.84:                               ;   in Loop: Header=BB1_81 Depth=2
	s_delay_alu instid0(VALU_DEP_1) | instskip(SKIP_2) | instid1(VALU_DEP_3)
	v_fma_f64 v[0:1], v[36:37], s[24:25], |v[92:93]|
	v_mul_f64_e32 v[6:7], 0xbc91a62633145c00, v[36:37]
	v_cvt_i32_f64_e32 v10, v[36:37]
	v_fmamk_f64 v[38:39], v[36:37], 0xbc91a62633145c00, v[0:1]
	s_delay_alu instid0(VALU_DEP_3) | instskip(NEXT) | instid1(VALU_DEP_1)
	v_add_f64_e32 v[32:33], v[0:1], v[6:7]
	v_add_f64_e64 v[34:35], v[0:1], -v[32:33]
	s_delay_alu instid0(VALU_DEP_3) | instskip(NEXT) | instid1(VALU_DEP_2)
	v_add_f64_e64 v[0:1], v[32:33], -v[38:39]
	v_add_f64_e32 v[32:33], v[34:35], v[6:7]
	v_fmamk_f64 v[6:7], v[36:37], 0x3c91a62633145c00, v[6:7]
	s_delay_alu instid0(VALU_DEP_2) | instskip(NEXT) | instid1(VALU_DEP_1)
	v_add_f64_e32 v[0:1], v[0:1], v[32:33]
	v_add_f64_e64 v[6:7], v[0:1], -v[6:7]
	s_delay_alu instid0(VALU_DEP_1) | instskip(NEXT) | instid1(VALU_DEP_1)
	v_fmac_f64_e32 v[6:7], 0xb97b839a252049c0, v[36:37]
	v_add_f64_e32 v[0:1], v[38:39], v[6:7]
	s_delay_alu instid0(VALU_DEP_1) | instskip(NEXT) | instid1(VALU_DEP_1)
	v_add_f64_e64 v[32:33], v[0:1], -v[38:39]
	v_add_f64_e64 v[6:7], v[6:7], -v[32:33]
.LBB1_85:                               ;   in Loop: Header=BB1_81 Depth=2
	s_or_b32 exec_lo, exec_lo, s1
                                        ; implicit-def: $vgpr38
                                        ; implicit-def: $vgpr32_vgpr33
                                        ; implicit-def: $vgpr34_vgpr35
	s_and_saveexec_b32 s1, s0
	s_delay_alu instid0(SALU_CYCLE_1)
	s_xor_b32 s0, exec_lo, s1
	s_cbranch_execz .LBB1_87
; %bb.86:                               ;   in Loop: Header=BB1_81 Depth=2
	v_cmp_le_f64_e64 vcc_lo, 0x7b000000, |v[92:93]|
	v_dual_cndmask_b32 v21, v11, v21 :: v_dual_cndmask_b32 v20, v92, v20
	s_delay_alu instid0(VALU_DEP_1) | instskip(SKIP_2) | instid1(VALU_DEP_3)
	v_mul_f64_e32 v[32:33], v[18:19], v[20:21]
	v_mul_f64_e32 v[34:35], v[16:17], v[20:21]
	v_mul_f64_e32 v[46:47], v[14:15], v[20:21]
	v_fma_f64 v[18:19], v[18:19], v[20:21], -v[32:33]
	s_delay_alu instid0(VALU_DEP_3) | instskip(NEXT) | instid1(VALU_DEP_3)
	v_fma_f64 v[16:17], v[16:17], v[20:21], -v[34:35]
	v_fma_f64 v[14:15], v[14:15], v[20:21], -v[46:47]
	s_delay_alu instid0(VALU_DEP_3) | instskip(NEXT) | instid1(VALU_DEP_1)
	v_add_f64_e32 v[36:37], v[34:35], v[18:19]
	v_add_f64_e64 v[38:39], v[36:37], -v[34:35]
	v_add_f64_e32 v[44:45], v[32:33], v[36:37]
	s_delay_alu instid0(VALU_DEP_2) | instskip(SKIP_1) | instid1(VALU_DEP_3)
	v_add_f64_e64 v[42:43], v[36:37], -v[38:39]
	v_add_f64_e64 v[18:19], v[18:19], -v[38:39]
	v_ldexp_f64 v[38:39], v[44:45], -2
	s_delay_alu instid0(VALU_DEP_3) | instskip(SKIP_1) | instid1(VALU_DEP_3)
	v_add_f64_e64 v[34:35], v[34:35], -v[42:43]
	v_add_f64_e32 v[42:43], v[46:47], v[16:17]
	v_cmp_neq_f64_e64 vcc_lo, 0x7ff00000, |v[38:39]|
	s_delay_alu instid0(VALU_DEP_3) | instskip(SKIP_1) | instid1(VALU_DEP_1)
	v_add_f64_e32 v[18:19], v[18:19], v[34:35]
	v_fract_f64_e32 v[34:35], v[38:39]
	v_ldexp_f64 v[34:35], v[34:35], 2
	s_delay_alu instid0(VALU_DEP_1) | instskip(NEXT) | instid1(VALU_DEP_1)
	v_dual_add_f64 v[32:33], v[44:45], -v[32:33] :: v_dual_cndmask_b32 v35, 0, v35, vcc_lo
	v_dual_add_f64 v[32:33], v[36:37], -v[32:33] :: v_dual_cndmask_b32 v34, 0, v34, vcc_lo
	v_add_f64_e32 v[36:37], v[42:43], v[18:19]
	s_delay_alu instid0(VALU_DEP_1) | instskip(SKIP_1) | instid1(VALU_DEP_2)
	v_add_f64_e32 v[38:39], v[32:33], v[36:37]
	v_add_f64_e64 v[48:49], v[36:37], -v[42:43]
	v_add_f64_e32 v[44:45], v[38:39], v[34:35]
	s_delay_alu instid0(VALU_DEP_2) | instskip(SKIP_2) | instid1(VALU_DEP_4)
	v_add_f64_e64 v[54:55], v[36:37], -v[48:49]
	v_add_f64_e64 v[18:19], v[18:19], -v[48:49]
	;; [unrolled: 1-line block ×3, first 2 shown]
	v_cmp_gt_f64_e32 vcc_lo, 0, v[44:45]
	v_add_f64_e64 v[44:45], v[42:43], -v[46:47]
	s_delay_alu instid0(VALU_DEP_3) | instskip(SKIP_1) | instid1(VALU_DEP_3)
	v_add_f64_e64 v[20:21], v[36:37], -v[20:21]
                                        ; implicit-def: $vgpr36_vgpr37
	v_cndmask_b32_e64 v41, 0, 0x40100000, vcc_lo
	v_add_f64_e64 v[52:53], v[42:43], -v[44:45]
	v_add_f64_e64 v[16:17], v[16:17], -v[44:45]
	;; [unrolled: 1-line block ×3, first 2 shown]
	s_delay_alu instid0(VALU_DEP_4) | instskip(NEXT) | instid1(VALU_DEP_4)
	v_add_f64_e32 v[34:35], v[34:35], v[40:41]
	v_add_f64_e64 v[44:45], v[46:47], -v[52:53]
	s_delay_alu instid0(VALU_DEP_3) | instskip(NEXT) | instid1(VALU_DEP_3)
	v_add_f64_e32 v[18:19], v[18:19], v[42:43]
	v_add_f64_e32 v[50:51], v[38:39], v[34:35]
	s_delay_alu instid0(VALU_DEP_3) | instskip(NEXT) | instid1(VALU_DEP_2)
	v_add_f64_e32 v[16:17], v[16:17], v[44:45]
	v_cvt_i32_f64_e32 v2, v[50:51]
	s_delay_alu instid0(VALU_DEP_2) | instskip(NEXT) | instid1(VALU_DEP_2)
	v_add_f64_e32 v[16:17], v[16:17], v[18:19]
	v_cvt_f64_i32_e32 v[48:49], v2
	s_delay_alu instid0(VALU_DEP_2) | instskip(NEXT) | instid1(VALU_DEP_2)
	v_add_f64_e32 v[14:15], v[14:15], v[16:17]
	v_add_f64_e64 v[34:35], v[34:35], -v[48:49]
	s_delay_alu instid0(VALU_DEP_2) | instskip(NEXT) | instid1(VALU_DEP_2)
	v_add_f64_e32 v[14:15], v[20:21], v[14:15]
	v_add_f64_e32 v[18:19], v[38:39], v[34:35]
	s_delay_alu instid0(VALU_DEP_1) | instskip(SKIP_1) | instid1(VALU_DEP_2)
	v_add_f64_e64 v[16:17], v[18:19], -v[34:35]
	v_cmp_le_f64_e32 vcc_lo, 0.5, v[18:19]
	v_add_f64_e64 v[16:17], v[38:39], -v[16:17]
	v_cndmask_b32_e64 v41, 0, 0x3ff00000, vcc_lo
	v_add_co_ci_u32_e64 v38, null, 0, v2, vcc_lo
	s_delay_alu instid0(VALU_DEP_3) | instskip(NEXT) | instid1(VALU_DEP_3)
	v_add_f64_e32 v[14:15], v[14:15], v[16:17]
	v_add_f64_e64 v[16:17], v[18:19], -v[40:41]
	s_delay_alu instid0(VALU_DEP_1) | instskip(NEXT) | instid1(VALU_DEP_1)
	v_add_f64_e32 v[18:19], v[16:17], v[14:15]
	v_mul_f64_e32 v[20:21], 0x3ff921fb54442d18, v[18:19]
	v_add_f64_e64 v[16:17], v[18:19], -v[16:17]
	s_delay_alu instid0(VALU_DEP_2) | instskip(NEXT) | instid1(VALU_DEP_2)
	v_fma_f64 v[34:35], v[18:19], s[20:21], -v[20:21]
	v_add_f64_e64 v[14:15], v[14:15], -v[16:17]
	s_delay_alu instid0(VALU_DEP_2) | instskip(NEXT) | instid1(VALU_DEP_1)
	v_fmac_f64_e32 v[34:35], 0x3c91a62633145c07, v[18:19]
	v_fmac_f64_e32 v[34:35], 0x3ff921fb54442d18, v[14:15]
	s_delay_alu instid0(VALU_DEP_1) | instskip(NEXT) | instid1(VALU_DEP_1)
	v_add_f64_e32 v[32:33], v[20:21], v[34:35]
	v_add_f64_e64 v[14:15], v[32:33], -v[20:21]
	s_delay_alu instid0(VALU_DEP_1)
	v_add_f64_e64 v[34:35], v[34:35], -v[14:15]
	s_and_not1_saveexec_b32 s0, s0
	s_cbranch_execnz .LBB1_88
	s_branch .LBB1_89
.LBB1_87:                               ;   in Loop: Header=BB1_81 Depth=2
	s_and_not1_saveexec_b32 s0, s0
	s_cbranch_execz .LBB1_89
.LBB1_88:                               ;   in Loop: Header=BB1_81 Depth=2
	s_delay_alu instid0(VALU_DEP_1) | instskip(SKIP_2) | instid1(VALU_DEP_2)
	v_fma_f64 v[14:15], v[36:37], s[24:25], |v[92:93]|
	v_mul_f64_e32 v[16:17], 0xbc91a62633145c00, v[36:37]
	v_cvt_i32_f64_e32 v38, v[36:37]
	v_add_f64_e32 v[18:19], v[14:15], v[16:17]
	s_delay_alu instid0(VALU_DEP_1) | instskip(SKIP_1) | instid1(VALU_DEP_1)
	v_add_f64_e64 v[20:21], v[14:15], -v[18:19]
	v_fmamk_f64 v[14:15], v[36:37], 0xbc91a62633145c00, v[14:15]
	v_add_f64_e64 v[18:19], v[18:19], -v[14:15]
	s_delay_alu instid0(VALU_DEP_3) | instskip(SKIP_1) | instid1(VALU_DEP_2)
	v_add_f64_e32 v[20:21], v[20:21], v[16:17]
	v_fmamk_f64 v[16:17], v[36:37], 0x3c91a62633145c00, v[16:17]
	v_add_f64_e32 v[18:19], v[18:19], v[20:21]
	s_delay_alu instid0(VALU_DEP_1) | instskip(NEXT) | instid1(VALU_DEP_1)
	v_add_f64_e64 v[16:17], v[18:19], -v[16:17]
	v_fmac_f64_e32 v[16:17], 0xb97b839a252049c0, v[36:37]
	s_delay_alu instid0(VALU_DEP_1) | instskip(NEXT) | instid1(VALU_DEP_1)
	v_add_f64_e32 v[32:33], v[14:15], v[16:17]
	v_add_f64_e64 v[14:15], v[32:33], -v[14:15]
	s_delay_alu instid0(VALU_DEP_1)
	v_add_f64_e64 v[34:35], v[16:17], -v[14:15]
.LBB1_89:                               ;   in Loop: Header=BB1_81 Depth=2
	s_or_b32 exec_lo, exec_lo, s0
	v_mul_f64_e32 v[14:15], v[0:1], v[0:1]
	v_cmp_class_f64_e64 s1, v[92:93], 0x1f8
	v_mul_f64_e32 v[16:17], v[32:33], v[32:33]
	v_mov_b64_e32 v[2:3], 0xbe5ae600b42fdfa7
	v_mul_f64_e32 v[44:45], 0.5, v[6:7]
	v_mul_f64_e32 v[52:53], 0.5, v[34:35]
	scratch_load_b64 v[4:5], off, off offset:40 ; 8-byte Folded Reload
	v_mov_b64_e32 v[68:69], 0xbe5ae600b42fdfa7
	v_mov_b64_e32 v[64:65], 0x3e21eeb69037ab78
	s_clause 0x1
	scratch_store_b64 off, v[92:93], off offset:8
	scratch_store_b64 off, v[74:75], off offset:48
	v_mul_f64_e32 v[18:19], 0.5, v[14:15]
	v_mul_f64_e64 v[46:47], v[0:1], -v[14:15]
	v_mul_f64_e64 v[54:55], v[32:33], -v[16:17]
	v_fmamk_f64 v[50:51], v[14:15], 0x3de5e0b2f9a43bb8, v[2:3]
	v_fmamk_f64 v[56:57], v[16:17], 0x3de5e0b2f9a43bb8, v[2:3]
	v_mul_f64_e32 v[20:21], 0.5, v[16:17]
	v_mov_b64_e32 v[2:3], 0x3e21eeb69037ab78
	s_delay_alu instid0(VALU_DEP_4) | instskip(NEXT) | instid1(VALU_DEP_4)
	v_fmaak_f64 v[50:51], v[14:15], v[50:51], 0x3ec71de3796cde01
	v_fmaak_f64 v[56:57], v[16:17], v[56:57], 0x3ec71de3796cde01
	s_delay_alu instid0(VALU_DEP_2) | instskip(NEXT) | instid1(VALU_DEP_1)
	v_fmaak_f64 v[50:51], v[14:15], v[50:51], 0xbf2a01a019e83e5c
	v_fmaak_f64 v[50:51], v[14:15], v[50:51], 0x3f81111111110bb3
	v_add_f64_e64 v[36:37], -v[18:19], 1.0
	s_delay_alu instid0(VALU_DEP_2) | instskip(NEXT) | instid1(VALU_DEP_2)
	v_fmac_f64_e32 v[44:45], v[46:47], v[50:51]
	v_add_f64_e64 v[48:49], -v[36:37], 1.0
	s_delay_alu instid0(VALU_DEP_2) | instskip(NEXT) | instid1(VALU_DEP_2)
	v_fma_f64 v[44:45], v[14:15], v[44:45], -v[6:7]
	v_add_f64_e64 v[18:19], v[48:49], -v[18:19]
	v_fmaak_f64 v[48:49], v[16:17], v[56:57], 0xbf2a01a019e83e5c
	s_delay_alu instid0(VALU_DEP_3) | instskip(NEXT) | instid1(VALU_DEP_2)
	v_fmac_f64_e32 v[44:45], 0xbfc5555555555555, v[46:47]
	v_fmaak_f64 v[48:49], v[16:17], v[48:49], 0x3f81111111110bb3
	s_delay_alu instid0(VALU_DEP_1) | instskip(SKIP_2) | instid1(VALU_DEP_2)
	v_fmac_f64_e32 v[52:53], v[54:55], v[48:49]
	v_fmamk_f64 v[48:49], v[14:15], 0xbda907db46cc5e42, v[2:3]
	v_fma_f64 v[6:7], v[0:1], -v[6:7], v[18:19]
	v_fmaak_f64 v[18:19], v[14:15], v[48:49], 0xbe927e4fa17f65f6
	s_delay_alu instid0(VALU_DEP_4)
	v_fma_f64 v[48:49], v[16:17], v[52:53], -v[34:35]
	v_fmamk_f64 v[52:53], v[16:17], 0xbda907db46cc5e42, v[2:3]
	v_and_b32_e32 v3, 1, v38
	v_add_f64_e64 v[42:43], -v[20:21], 1.0
	v_and_b32_e32 v2, 1, v10
	v_mul_f64_e32 v[50:51], v[14:15], v[14:15]
	v_fmaak_f64 v[18:19], v[14:15], v[18:19], 0x3efa01a019f4ec90
	v_cmp_eq_u32_e32 vcc_lo, 0, v3
	v_lshlrev_b32_e32 v3, 30, v38
	v_cmp_eq_u32_e64 s0, 0, v2
	s_delay_alu instid0(VALU_DEP_4) | instskip(NEXT) | instid1(VALU_DEP_1)
	v_fmaak_f64 v[18:19], v[14:15], v[18:19], 0xbf56c16c16c16967
	v_fmaak_f64 v[14:15], v[14:15], v[18:19], 0x3fa5555555555555
	v_add_f64_e64 v[58:59], -v[42:43], 1.0
	s_delay_alu instid0(VALU_DEP_2) | instskip(NEXT) | instid1(VALU_DEP_2)
	v_fmac_f64_e32 v[6:7], v[50:51], v[14:15]
	v_add_f64_e64 v[20:21], v[58:59], -v[20:21]
	s_delay_alu instid0(VALU_DEP_2) | instskip(NEXT) | instid1(VALU_DEP_2)
	v_add_f64_e32 v[6:7], v[36:37], v[6:7]
	v_fma_f64 v[20:21], v[32:33], -v[34:35], v[20:21]
	v_add_f64_e64 v[34:35], v[0:1], -v[44:45]
	s_delay_alu instid0(VALU_DEP_1) | instskip(SKIP_1) | instid1(VALU_DEP_2)
	v_dual_mul_f64 v[56:57], v[16:17], v[16:17] :: v_dual_cndmask_b32 v2, v6, v34, s0
	v_fmaak_f64 v[18:19], v[16:17], v[52:53], 0xbe927e4fa17f65f6
	v_cndmask_b32_e64 v6, 0, v2, s1
	v_fmac_f64_e32 v[48:49], 0xbfc5555555555555, v[54:55]
	v_lshlrev_b32_e32 v2, 30, v10
	s_delay_alu instid0(VALU_DEP_4) | instskip(NEXT) | instid1(VALU_DEP_2)
	v_fmaak_f64 v[14:15], v[16:17], v[18:19], 0x3efa01a019f4ec90
	v_xor_b32_e32 v2, v2, v93
	s_delay_alu instid0(VALU_DEP_2) | instskip(NEXT) | instid1(VALU_DEP_1)
	v_fmaak_f64 v[14:15], v[16:17], v[14:15], 0xbf56c16c16c16967
	v_fmaak_f64 v[14:15], v[16:17], v[14:15], 0x3fa5555555555555
	s_delay_alu instid0(VALU_DEP_1) | instskip(SKIP_1) | instid1(VALU_DEP_2)
	v_fmac_f64_e32 v[20:21], v[56:57], v[14:15]
	v_add_f64_e64 v[0:1], v[32:33], -v[48:49]
	v_add_f64_e32 v[14:15], v[42:43], v[20:21]
	s_delay_alu instid0(VALU_DEP_2) | instskip(NEXT) | instid1(VALU_DEP_1)
	v_xor_b32_e32 v1, 0x80000000, v1
	v_cndmask_b32_e32 v1, v1, v15, vcc_lo
	s_delay_alu instid0(VALU_DEP_1) | instskip(NEXT) | instid1(VALU_DEP_4)
	v_bitop3_b32 v1, v1, v3, 0x80000000 bitop3:0x78
	v_dual_cndmask_b32 v3, v7, v35, s0 :: v_dual_cndmask_b32 v0, v0, v14, vcc_lo
	v_add_f64_e32 v[14:15], v[74:75], v[74:75]
	s_delay_alu instid0(VALU_DEP_3) | instskip(NEXT) | instid1(VALU_DEP_3)
	v_cndmask_b32_e64 v1, 0x7ff80000, v1, s1
	v_bitop3_b32 v2, v3, v2, 0x80000000 bitop3:0x78
	s_delay_alu instid0(VALU_DEP_4) | instskip(NEXT) | instid1(VALU_DEP_2)
	v_cndmask_b32_e64 v0, 0, v0, s1
	v_cndmask_b32_e64 v7, 0x7ff80000, v2, s1
	s_delay_alu instid0(VALU_DEP_2)
	v_mul_f64_e32 v[16:17], v[0:1], v[0:1]
	scratch_load_b64 v[2:3], off, off offset:16 ; 8-byte Folded Reload
	v_mul_f64_e32 v[10:11], v[6:7], v[6:7]
	v_cmp_gt_f64_e64 s0, s[26:27], v[6:7]
	v_fma_f64 v[18:19], v[74:75], v[74:75], -v[14:15]
	v_mul_f64_e32 v[20:21], v[8:9], v[16:17]
	s_delay_alu instid0(VALU_DEP_3) | instskip(SKIP_3) | instid1(VALU_DEP_1)
	v_cndmask_b32_e64 v11, v11, 0x3c9cd2b2, s0
	v_cndmask_b32_e64 v10, v10, 0x97d889bc, s0
	;; [unrolled: 1-line block ×4, first 2 shown]
	v_mul_f64_e64 v[0:1], -v[6:7], v[0:1]
	v_add_f64_e32 v[16:17], v[8:9], v[18:19]
	v_fmac_f64_e32 v[20:21], v[74:75], v[74:75]
	s_delay_alu instid0(VALU_DEP_1) | instskip(SKIP_2) | instid1(VALU_DEP_3)
	v_mul_f64_e32 v[18:19], v[16:17], v[20:21]
	v_div_scale_f64 v[36:37], null, v[20:21], v[20:21], 1.0
	v_mul_f64_e64 v[16:17], v[16:17], -v[126:127]
	v_div_scale_f64 v[32:33], null, v[18:19], v[18:19], 1.0
	s_delay_alu instid0(VALU_DEP_3) | instskip(SKIP_1) | instid1(VALU_DEP_2)
	v_rcp_f64_e32 v[42:43], v[36:37]
	v_div_scale_f64 v[48:49], vcc_lo, 1.0, v[18:19], 1.0
	v_rcp_f64_e32 v[38:39], v[32:33]
	s_delay_alu instid0(TRANS32_DEP_2) | instskip(NEXT) | instid1(TRANS32_DEP_1)
	v_fma_f64 v[46:47], -v[36:37], v[42:43], 1.0
	v_fma_f64 v[44:45], -v[32:33], v[38:39], 1.0
	s_delay_alu instid0(VALU_DEP_2) | instskip(NEXT) | instid1(VALU_DEP_2)
	v_fmac_f64_e32 v[42:43], v[42:43], v[46:47]
	v_fmac_f64_e32 v[38:39], v[38:39], v[44:45]
	s_delay_alu instid0(VALU_DEP_2) | instskip(NEXT) | instid1(VALU_DEP_2)
	v_fma_f64 v[46:47], -v[36:37], v[42:43], 1.0
	v_fma_f64 v[44:45], -v[32:33], v[38:39], 1.0
	s_delay_alu instid0(VALU_DEP_2) | instskip(NEXT) | instid1(VALU_DEP_2)
	v_fmac_f64_e32 v[42:43], v[42:43], v[46:47]
	v_fmac_f64_e32 v[38:39], v[38:39], v[44:45]
	v_div_scale_f64 v[44:45], s2, 1.0, v[20:21], 1.0
	s_delay_alu instid0(VALU_DEP_2) | instskip(NEXT) | instid1(VALU_DEP_2)
	v_mul_f64_e32 v[46:47], v[48:49], v[38:39]
	v_mul_f64_e32 v[50:51], v[44:45], v[42:43]
	s_delay_alu instid0(VALU_DEP_2) | instskip(NEXT) | instid1(VALU_DEP_2)
	v_fma_f64 v[32:33], -v[32:33], v[46:47], v[48:49]
	v_fma_f64 v[36:37], -v[36:37], v[50:51], v[44:45]
	s_delay_alu instid0(VALU_DEP_2) | instskip(SKIP_1) | instid1(VALU_DEP_2)
	v_div_fmas_f64 v[32:33], v[32:33], v[38:39], v[46:47]
	s_mov_b32 vcc_lo, s2
	v_div_fmas_f64 v[36:37], v[36:37], v[42:43], v[50:51]
	s_delay_alu instid0(VALU_DEP_2) | instskip(NEXT) | instid1(VALU_DEP_2)
	v_div_fixup_f64 v[18:19], v[32:33], v[18:19], 1.0
	v_div_fixup_f64 v[34:35], v[36:37], v[20:21], 1.0
	v_fmac_f64_e32 v[20:21], -2.0, v[74:75]
	v_mul_f64_e32 v[36:37], v[10:11], v[10:11]
	s_wait_loadcnt 0x1
	s_delay_alu instid0(VALU_DEP_2) | instskip(NEXT) | instid1(VALU_DEP_2)
	v_mul_f64_e32 v[20:21], v[4:5], v[20:21]
	v_div_scale_f64 v[42:43], null, v[36:37], v[36:37], v[28:29]
	s_delay_alu instid0(VALU_DEP_2) | instskip(NEXT) | instid1(VALU_DEP_2)
	v_div_scale_f64 v[38:39], null, v[10:11], v[10:11], v[20:21]
	v_rcp_f64_e32 v[46:47], v[42:43]
	v_div_scale_f64 v[52:53], vcc_lo, v[20:21], v[10:11], v[20:21]
	s_delay_alu instid0(VALU_DEP_2) | instskip(NEXT) | instid1(TRANS32_DEP_2)
	v_rcp_f64_e32 v[44:45], v[38:39]
	v_fma_f64 v[50:51], -v[42:43], v[46:47], 1.0
	s_delay_alu instid0(TRANS32_DEP_1) | instskip(NEXT) | instid1(VALU_DEP_2)
	v_fma_f64 v[48:49], -v[38:39], v[44:45], 1.0
	v_fmac_f64_e32 v[46:47], v[46:47], v[50:51]
	s_delay_alu instid0(VALU_DEP_2) | instskip(NEXT) | instid1(VALU_DEP_2)
	v_fmac_f64_e32 v[44:45], v[44:45], v[48:49]
	v_fma_f64 v[50:51], -v[42:43], v[46:47], 1.0
	s_delay_alu instid0(VALU_DEP_2) | instskip(NEXT) | instid1(VALU_DEP_2)
	v_fma_f64 v[48:49], -v[38:39], v[44:45], 1.0
	v_fmac_f64_e32 v[46:47], v[46:47], v[50:51]
	s_delay_alu instid0(VALU_DEP_2) | instskip(SKIP_1) | instid1(VALU_DEP_2)
	v_fmac_f64_e32 v[44:45], v[44:45], v[48:49]
	v_div_scale_f64 v[48:49], s1, v[28:29], v[36:37], v[28:29]
	v_mul_f64_e32 v[50:51], v[52:53], v[44:45]
	s_delay_alu instid0(VALU_DEP_2) | instskip(NEXT) | instid1(VALU_DEP_2)
	v_mul_f64_e32 v[54:55], v[48:49], v[46:47]
	v_fma_f64 v[38:39], -v[38:39], v[50:51], v[52:53]
	s_delay_alu instid0(VALU_DEP_2) | instskip(SKIP_2) | instid1(VALU_DEP_4)
	v_fma_f64 v[42:43], -v[42:43], v[54:55], v[48:49]
	v_fma_f64 v[48:49], v[74:75], v[74:75], v[8:9]
	v_add_f64_e32 v[52:53], v[126:127], v[126:127]
	v_div_fmas_f64 v[38:39], v[38:39], v[44:45], v[50:51]
	s_mov_b32 vcc_lo, s1
	s_delay_alu instid0(VALU_DEP_3)
	v_mul_f64_e32 v[44:45], v[14:15], v[48:49]
	v_div_fmas_f64 v[42:43], v[42:43], v[46:47], v[54:55]
	v_add_f64_e32 v[46:47], -1.0, v[74:75]
	v_mul_f64_e32 v[48:49], v[126:127], v[52:53]
	s_mov_b32 s1, 0
	v_div_fixup_f64 v[10:11], v[38:39], v[10:11], v[20:21]
	s_delay_alu instid0(VALU_DEP_4) | instskip(SKIP_1) | instid1(VALU_DEP_4)
	v_div_fixup_f64 v[36:37], v[42:43], v[36:37], v[28:29]
	v_mul_f64_e32 v[42:43], s[8:9], v[14:15]
	v_mul_f64_e32 v[38:39], v[46:47], v[48:49]
	s_delay_alu instid0(VALU_DEP_4) | instskip(NEXT) | instid1(VALU_DEP_4)
	v_fmac_f64_e32 v[10:11], s[8:9], v[14:15]
	v_add_f64_e64 v[6:7], v[36:37], -v[8:9]
	s_delay_alu instid0(VALU_DEP_4)
	v_fma_f64 v[14:15], -v[4:5], v[42:43], v[44:45]
	scratch_load_b64 v[4:5], off, off       ; 8-byte Folded Reload
	s_wait_loadcnt 0x1
	v_fma_f64 v[20:21], -v[2:3], v[46:47], v[44:45]
	scratch_load_b64 v[2:3], off, off offset:24 ; 8-byte Folded Reload
	v_mul_f64_e32 v[32:33], v[38:39], v[34:35]
	v_mul_f64_e64 v[10:11], v[18:19], -v[10:11]
	v_mul_f64_e32 v[0:1], v[6:7], v[0:1]
	v_fma_f64 v[12:13], v[14:15], v[18:19], 1.0
	scratch_store_b64 off, v[10:11], off offset:64 ; 8-byte Folded Spill
	s_wait_loadcnt 0x1
	v_mul_f64_e64 v[6:7], v[34:35], -v[4:5]
	s_wait_loadcnt 0x0
	v_add_f64_e64 v[20:21], v[20:21], -v[2:3]
	v_mul_f64_e32 v[2:3], v[16:17], v[34:35]
	s_delay_alu instid0(VALU_DEP_2)
	v_fma_f64 v[16:17], v[20:21], v[18:19], -v[32:33]
	scratch_load_b64 v[32:33], off, off offset:144 ; 8-byte Folded Reload
	v_mul_f64_e32 v[18:19], v[0:1], v[34:35]
	s_clause 0x4
	scratch_store_b64 off, v[2:3], off offset:32
	scratch_store_b64 off, v[6:7], off offset:56
	;; [unrolled: 1-line block ×5, first 2 shown]
	s_wait_loadcnt 0x0
	v_mul_f64_e32 v[0:1], v[32:33], v[2:3]
	scratch_load_b64 v[2:3], off, off offset:152 ; 8-byte Folded Reload
	v_mul_f64_e32 v[10:11], v[32:33], v[10:11]
	s_wait_xcnt 0x4
	v_mul_f64_e32 v[6:7], v[32:33], v[6:7]
	v_mul_f64_e64 v[14:15], v[32:33], -v[12:13]
	s_wait_xcnt 0x2
	v_mul_f64_e64 v[16:17], v[32:33], -v[16:17]
	s_wait_xcnt 0x1
	v_mul_f64_e32 v[18:19], v[32:33], v[18:19]
	v_add_f64_e64 v[0:1], |v[74:75]|, |v[0:1]|
	v_add_f64_e64 v[6:7], |v[92:93]|, |v[6:7]|
	s_delay_alu instid0(VALU_DEP_4) | instskip(NEXT) | instid1(VALU_DEP_4)
	v_add_f64_e64 v[16:17], |v[126:127]|, |v[16:17]|
	v_add_f64_e64 v[18:19], |v[4:5]|, |v[18:19]|
	s_delay_alu instid0(VALU_DEP_4)
	v_add_f64_e32 v[0:1], 0x3f50624dd2f1a9fc, v[0:1]
	scratch_store_b64 off, v[0:1], off offset:96 ; 8-byte Folded Spill
	s_wait_xcnt 0x0
	v_add_f64_e32 v[0:1], 0x3f50624dd2f1a9fc, v[6:7]
	scratch_store_b64 off, v[0:1], off offset:104 ; 8-byte Folded Spill
	s_wait_loadcnt 0x0
	v_add_f64_e64 v[10:11], |v[2:3]|, |v[10:11]|
	scratch_load_b64 v[2:3], off, off offset:160 ; 8-byte Folded Reload
	s_wait_xcnt 0x1
	v_add_f64_e32 v[0:1], 0x3f50624dd2f1a9fc, v[10:11]
	scratch_store_b64 off, v[0:1], off offset:112 ; 8-byte Folded Spill
	s_wait_loadcnt 0x0
	v_add_f64_e64 v[14:15], |v[2:3]|, |v[14:15]|
	s_wait_xcnt 0x0
	s_delay_alu instid0(VALU_DEP_1)
	v_add_f64_e32 v[0:1], 0x3f50624dd2f1a9fc, v[14:15]
	scratch_store_b64 off, v[0:1], off offset:120 ; 8-byte Folded Spill
	s_wait_xcnt 0x0
	v_add_f64_e32 v[0:1], 0x3f50624dd2f1a9fc, v[16:17]
	scratch_store_b64 off, v[0:1], off offset:128 ; 8-byte Folded Spill
	s_wait_xcnt 0x0
	v_add_f64_e32 v[0:1], 0x3f50624dd2f1a9fc, v[18:19]
	scratch_store_b64 off, v[0:1], off offset:136 ; 8-byte Folded Spill
	s_branch .LBB1_93
.LBB1_90:                               ;   in Loop: Header=BB1_93 Depth=3
	s_or_b32 exec_lo, exec_lo, s33
.LBB1_91:                               ;   in Loop: Header=BB1_93 Depth=3
	s_delay_alu instid0(SALU_CYCLE_1) | instskip(NEXT) | instid1(SALU_CYCLE_1)
	s_or_b32 exec_lo, exec_lo, s2
	s_xor_b32 s2, exec_lo, -1
.LBB1_92:                               ;   in Loop: Header=BB1_93 Depth=3
	s_or_b32 exec_lo, exec_lo, s0
	v_mov_b64_e32 v[126:127], v[72:73]
	s_and_b32 s0, exec_lo, s2
	s_delay_alu instid0(SALU_CYCLE_1) | instskip(NEXT) | instid1(SALU_CYCLE_1)
	s_or_b32 s1, s0, s1
	s_and_not1_b32 exec_lo, exec_lo, s1
	s_cbranch_execz .LBB1_141
.LBB1_93:                               ;   Parent Loop BB1_79 Depth=1
                                        ;     Parent Loop BB1_81 Depth=2
                                        ; =>    This Inner Loop Header: Depth=3
	scratch_load_b64 v[0:1], off, off offset:56 ; 8-byte Folded Reload
	v_mov_b64_e32 v[54:55], v[32:33]
                                        ; implicit-def: $vgpr11
                                        ; implicit-def: $vgpr16_vgpr17
                                        ; implicit-def: $vgpr18_vgpr19
	s_wait_loadcnt 0x0
	s_delay_alu instid0(VALU_DEP_1) | instskip(SKIP_3) | instid1(VALU_DEP_1)
	v_mul_f64_e32 v[52:53], v[0:1], v[54:55]
	scratch_load_b64 v[0:1], off, off offset:8 ; 8-byte Folded Reload
	s_wait_loadcnt 0x0
	v_fmamk_f64 v[14:15], v[52:53], 0x3fc999999999999a, v[0:1]
	v_cmp_ngt_f64_e64 s0, 0x41d00000, |v[14:15]|
	v_trig_preop_f64 v[20:21], |v[14:15]|, 0
	v_trig_preop_f64 v[6:7], |v[14:15]|, 1
	v_ldexp_f64 v[32:33], |v[14:15]|, 0xffffff80
	v_trig_preop_f64 v[0:1], |v[14:15]|, 2
	v_and_b32_e32 v10, 0x7fffffff, v15
	s_wait_xcnt 0x0
	s_and_saveexec_b32 s2, s0
	s_delay_alu instid0(SALU_CYCLE_1)
	s_xor_b32 s2, exec_lo, s2
	s_cbranch_execz .LBB1_95
; %bb.94:                               ;   in Loop: Header=BB1_93 Depth=3
	v_cmp_le_f64_e64 vcc_lo, 0x7b000000, |v[14:15]|
	s_delay_alu instid0(VALU_DEP_4) | instskip(SKIP_1) | instid1(VALU_DEP_1)
	v_cndmask_b32_e32 v17, v10, v33, vcc_lo
	v_cndmask_b32_e32 v16, v14, v32, vcc_lo
	v_mul_f64_e32 v[18:19], v[20:21], v[16:17]
	v_mul_f64_e32 v[34:35], v[6:7], v[16:17]
	s_delay_alu instid0(VALU_DEP_2) | instskip(NEXT) | instid1(VALU_DEP_1)
	v_fma_f64 v[36:37], v[20:21], v[16:17], -v[18:19]
	v_add_f64_e32 v[38:39], v[34:35], v[36:37]
	s_delay_alu instid0(VALU_DEP_1) | instskip(SKIP_1) | instid1(VALU_DEP_2)
	v_add_f64_e64 v[42:43], v[38:39], -v[34:35]
	v_add_f64_e32 v[46:47], v[18:19], v[38:39]
	v_add_f64_e64 v[44:45], v[38:39], -v[42:43]
	v_add_f64_e64 v[36:37], v[36:37], -v[42:43]
	v_mul_f64_e32 v[48:49], v[0:1], v[16:17]
	v_fma_f64 v[50:51], v[6:7], v[16:17], -v[34:35]
	v_ldexp_f64 v[42:43], v[46:47], -2
	v_add_f64_e64 v[18:19], v[46:47], -v[18:19]
	v_add_f64_e64 v[34:35], v[34:35], -v[44:45]
	s_delay_alu instid0(VALU_DEP_4) | instskip(NEXT) | instid1(VALU_DEP_4)
	v_add_f64_e32 v[44:45], v[48:49], v[50:51]
	v_cmp_neq_f64_e64 vcc_lo, 0x7ff00000, |v[42:43]|
	s_delay_alu instid0(VALU_DEP_4) | instskip(SKIP_3) | instid1(VALU_DEP_2)
	v_add_f64_e64 v[18:19], v[38:39], -v[18:19]
	v_fma_f64 v[16:17], v[0:1], v[16:17], -v[48:49]
	v_add_f64_e32 v[34:35], v[36:37], v[34:35]
	v_fract_f64_e32 v[36:37], v[42:43]
	v_add_f64_e32 v[38:39], v[44:45], v[34:35]
	s_delay_alu instid0(VALU_DEP_2) | instskip(NEXT) | instid1(VALU_DEP_1)
	v_ldexp_f64 v[36:37], v[36:37], 2
	v_dual_add_f64 v[42:43], v[18:19], v[38:39] :: v_dual_cndmask_b32 v37, 0, v37, vcc_lo
	s_delay_alu instid0(VALU_DEP_2) | instskip(SKIP_1) | instid1(VALU_DEP_2)
	v_cndmask_b32_e32 v36, 0, v36, vcc_lo
	v_add_f64_e64 v[56:57], v[38:39], -v[44:45]
	v_add_f64_e32 v[46:47], v[42:43], v[36:37]
	v_add_f64_e64 v[18:19], v[42:43], -v[18:19]
	s_delay_alu instid0(VALU_DEP_3) | instskip(SKIP_1) | instid1(VALU_DEP_4)
	v_add_f64_e64 v[62:63], v[38:39], -v[56:57]
	v_add_f64_e64 v[34:35], v[34:35], -v[56:57]
	v_cmp_gt_f64_e32 vcc_lo, 0, v[46:47]
	v_add_f64_e64 v[46:47], v[44:45], -v[48:49]
	v_add_f64_e64 v[18:19], v[38:39], -v[18:19]
	v_cndmask_b32_e64 v41, 0, 0x40100000, vcc_lo
	s_delay_alu instid0(VALU_DEP_3) | instskip(SKIP_2) | instid1(VALU_DEP_4)
	v_add_f64_e64 v[60:61], v[44:45], -v[46:47]
	v_add_f64_e64 v[46:47], v[50:51], -v[46:47]
	;; [unrolled: 1-line block ×3, first 2 shown]
	v_add_f64_e32 v[36:37], v[36:37], v[40:41]
	s_delay_alu instid0(VALU_DEP_4) | instskip(NEXT) | instid1(VALU_DEP_3)
	v_add_f64_e64 v[50:51], v[48:49], -v[60:61]
	v_add_f64_e32 v[34:35], v[34:35], v[44:45]
	s_delay_alu instid0(VALU_DEP_3) | instskip(NEXT) | instid1(VALU_DEP_3)
	v_add_f64_e32 v[58:59], v[42:43], v[36:37]
	v_add_f64_e32 v[46:47], v[46:47], v[50:51]
	s_delay_alu instid0(VALU_DEP_2) | instskip(NEXT) | instid1(VALU_DEP_2)
	v_cvt_i32_f64_e32 v2, v[58:59]
	v_add_f64_e32 v[34:35], v[46:47], v[34:35]
	s_delay_alu instid0(VALU_DEP_2) | instskip(NEXT) | instid1(VALU_DEP_2)
	v_cvt_f64_i32_e32 v[56:57], v2
	v_add_f64_e32 v[16:17], v[16:17], v[34:35]
	s_delay_alu instid0(VALU_DEP_2) | instskip(NEXT) | instid1(VALU_DEP_2)
	v_add_f64_e64 v[36:37], v[36:37], -v[56:57]
	v_add_f64_e32 v[16:17], v[18:19], v[16:17]
	s_delay_alu instid0(VALU_DEP_2) | instskip(NEXT) | instid1(VALU_DEP_1)
	v_add_f64_e32 v[44:45], v[42:43], v[36:37]
	v_add_f64_e64 v[34:35], v[44:45], -v[36:37]
	v_cmp_le_f64_e32 vcc_lo, 0.5, v[44:45]
	s_delay_alu instid0(VALU_DEP_2) | instskip(SKIP_2) | instid1(VALU_DEP_3)
	v_add_f64_e64 v[18:19], v[42:43], -v[34:35]
	v_cndmask_b32_e64 v41, 0, 0x3ff00000, vcc_lo
	v_add_co_ci_u32_e64 v11, null, 0, v2, vcc_lo
	v_add_f64_e32 v[16:17], v[16:17], v[18:19]
	s_delay_alu instid0(VALU_DEP_3) | instskip(NEXT) | instid1(VALU_DEP_1)
	v_add_f64_e64 v[18:19], v[44:45], -v[40:41]
	v_add_f64_e32 v[34:35], v[18:19], v[16:17]
	s_delay_alu instid0(VALU_DEP_1) | instskip(SKIP_1) | instid1(VALU_DEP_2)
	v_mul_f64_e32 v[36:37], 0x3ff921fb54442d18, v[34:35]
	v_add_f64_e64 v[18:19], v[34:35], -v[18:19]
	v_fma_f64 v[38:39], v[34:35], s[20:21], -v[36:37]
	s_delay_alu instid0(VALU_DEP_2) | instskip(NEXT) | instid1(VALU_DEP_2)
	v_add_f64_e64 v[16:17], v[16:17], -v[18:19]
	v_fmac_f64_e32 v[38:39], 0x3c91a62633145c07, v[34:35]
	s_delay_alu instid0(VALU_DEP_1) | instskip(NEXT) | instid1(VALU_DEP_1)
	v_fmac_f64_e32 v[38:39], 0x3ff921fb54442d18, v[16:17]
	v_add_f64_e32 v[16:17], v[36:37], v[38:39]
	s_delay_alu instid0(VALU_DEP_1) | instskip(NEXT) | instid1(VALU_DEP_1)
	v_add_f64_e64 v[18:19], v[16:17], -v[36:37]
	v_add_f64_e64 v[18:19], v[38:39], -v[18:19]
.LBB1_95:                               ;   in Loop: Header=BB1_93 Depth=3
	s_or_saveexec_b32 s2, s2
	v_mul_f64_e64 v[34:35], |v[14:15]|, s[22:23]
	s_delay_alu instid0(VALU_DEP_1)
	v_rndne_f64_e32 v[36:37], v[34:35]
	s_xor_b32 exec_lo, exec_lo, s2
	s_cbranch_execz .LBB1_97
; %bb.96:                               ;   in Loop: Header=BB1_93 Depth=3
	s_delay_alu instid0(VALU_DEP_1) | instskip(SKIP_2) | instid1(VALU_DEP_3)
	v_fma_f64 v[16:17], v[36:37], s[24:25], |v[14:15]|
	v_mul_f64_e32 v[18:19], 0xbc91a62633145c00, v[36:37]
	v_cvt_i32_f64_e32 v11, v[36:37]
	v_fmamk_f64 v[42:43], v[36:37], 0xbc91a62633145c00, v[16:17]
	s_delay_alu instid0(VALU_DEP_3) | instskip(NEXT) | instid1(VALU_DEP_1)
	v_add_f64_e32 v[34:35], v[16:17], v[18:19]
	v_add_f64_e64 v[38:39], v[16:17], -v[34:35]
	s_delay_alu instid0(VALU_DEP_3) | instskip(NEXT) | instid1(VALU_DEP_2)
	v_add_f64_e64 v[16:17], v[34:35], -v[42:43]
	v_add_f64_e32 v[34:35], v[38:39], v[18:19]
	v_fmamk_f64 v[18:19], v[36:37], 0x3c91a62633145c00, v[18:19]
	s_delay_alu instid0(VALU_DEP_2) | instskip(NEXT) | instid1(VALU_DEP_1)
	v_add_f64_e32 v[16:17], v[16:17], v[34:35]
	v_add_f64_e64 v[18:19], v[16:17], -v[18:19]
	s_delay_alu instid0(VALU_DEP_1) | instskip(NEXT) | instid1(VALU_DEP_1)
	v_fmac_f64_e32 v[18:19], 0xb97b839a252049c0, v[36:37]
	v_add_f64_e32 v[16:17], v[42:43], v[18:19]
	s_delay_alu instid0(VALU_DEP_1) | instskip(NEXT) | instid1(VALU_DEP_1)
	v_add_f64_e64 v[34:35], v[16:17], -v[42:43]
	v_add_f64_e64 v[18:19], v[18:19], -v[34:35]
.LBB1_97:                               ;   in Loop: Header=BB1_93 Depth=3
	s_or_b32 exec_lo, exec_lo, s2
                                        ; implicit-def: $vgpr42
                                        ; implicit-def: $vgpr34_vgpr35
                                        ; implicit-def: $vgpr38_vgpr39
	s_and_saveexec_b32 s2, s0
	s_delay_alu instid0(SALU_CYCLE_1)
	s_xor_b32 s0, exec_lo, s2
	s_cbranch_execz .LBB1_99
; %bb.98:                               ;   in Loop: Header=BB1_93 Depth=3
	v_cmp_le_f64_e64 vcc_lo, 0x7b000000, |v[14:15]|
	v_cndmask_b32_e32 v33, v10, v33, vcc_lo
	v_cndmask_b32_e32 v32, v14, v32, vcc_lo
	s_delay_alu instid0(VALU_DEP_1) | instskip(SKIP_1) | instid1(VALU_DEP_2)
	v_mul_f64_e32 v[34:35], v[20:21], v[32:33]
	v_mul_f64_e32 v[36:37], v[6:7], v[32:33]
	v_fma_f64 v[20:21], v[20:21], v[32:33], -v[34:35]
	s_delay_alu instid0(VALU_DEP_1) | instskip(NEXT) | instid1(VALU_DEP_1)
	v_add_f64_e32 v[38:39], v[36:37], v[20:21]
	v_add_f64_e64 v[42:43], v[38:39], -v[36:37]
	v_add_f64_e32 v[46:47], v[34:35], v[38:39]
	s_delay_alu instid0(VALU_DEP_2) | instskip(SKIP_2) | instid1(VALU_DEP_4)
	v_add_f64_e64 v[44:45], v[38:39], -v[42:43]
	v_add_f64_e64 v[20:21], v[20:21], -v[42:43]
	v_fma_f64 v[6:7], v[6:7], v[32:33], -v[36:37]
	v_ldexp_f64 v[42:43], v[46:47], -2
	v_mul_f64_e32 v[48:49], v[0:1], v[32:33]
	v_add_f64_e64 v[36:37], v[36:37], -v[44:45]
	s_delay_alu instid0(VALU_DEP_3) | instskip(NEXT) | instid1(VALU_DEP_3)
	v_cmp_neq_f64_e64 vcc_lo, 0x7ff00000, |v[42:43]|
	v_add_f64_e32 v[44:45], v[48:49], v[6:7]
	v_fma_f64 v[0:1], v[0:1], v[32:33], -v[48:49]
	s_delay_alu instid0(VALU_DEP_4) | instskip(SKIP_1) | instid1(VALU_DEP_1)
	v_add_f64_e32 v[20:21], v[20:21], v[36:37]
	v_fract_f64_e32 v[36:37], v[42:43]
	v_ldexp_f64 v[36:37], v[36:37], 2
	s_delay_alu instid0(VALU_DEP_1) | instskip(NEXT) | instid1(VALU_DEP_1)
	v_dual_add_f64 v[34:35], v[46:47], -v[34:35] :: v_dual_cndmask_b32 v36, 0, v36, vcc_lo
	v_dual_add_f64 v[34:35], v[38:39], -v[34:35] :: v_dual_cndmask_b32 v37, 0, v37, vcc_lo
	v_add_f64_e32 v[38:39], v[44:45], v[20:21]
	s_delay_alu instid0(VALU_DEP_1) | instskip(SKIP_1) | instid1(VALU_DEP_2)
	v_add_f64_e32 v[42:43], v[34:35], v[38:39]
	v_add_f64_e64 v[50:51], v[38:39], -v[44:45]
	v_add_f64_e32 v[46:47], v[42:43], v[36:37]
	s_delay_alu instid0(VALU_DEP_2) | instskip(SKIP_2) | instid1(VALU_DEP_4)
	v_add_f64_e64 v[60:61], v[38:39], -v[50:51]
	v_add_f64_e64 v[20:21], v[20:21], -v[50:51]
	;; [unrolled: 1-line block ×3, first 2 shown]
	v_cmp_gt_f64_e32 vcc_lo, 0, v[46:47]
	v_add_f64_e64 v[46:47], v[44:45], -v[48:49]
	s_delay_alu instid0(VALU_DEP_3) | instskip(SKIP_1) | instid1(VALU_DEP_3)
	v_add_f64_e64 v[32:33], v[38:39], -v[32:33]
	v_cndmask_b32_e64 v41, 0, 0x40100000, vcc_lo
	v_add_f64_e64 v[58:59], v[44:45], -v[46:47]
	v_add_f64_e64 v[6:7], v[6:7], -v[46:47]
	;; [unrolled: 1-line block ×3, first 2 shown]
	s_delay_alu instid0(VALU_DEP_4) | instskip(NEXT) | instid1(VALU_DEP_4)
	v_add_f64_e32 v[36:37], v[36:37], v[40:41]
	v_add_f64_e64 v[46:47], v[48:49], -v[58:59]
	s_delay_alu instid0(VALU_DEP_3) | instskip(NEXT) | instid1(VALU_DEP_3)
	v_add_f64_e32 v[20:21], v[20:21], v[44:45]
	v_add_f64_e32 v[56:57], v[42:43], v[36:37]
	s_delay_alu instid0(VALU_DEP_3) | instskip(NEXT) | instid1(VALU_DEP_2)
	v_add_f64_e32 v[6:7], v[6:7], v[46:47]
	v_cvt_i32_f64_e32 v2, v[56:57]
	s_delay_alu instid0(VALU_DEP_2) | instskip(NEXT) | instid1(VALU_DEP_2)
	v_add_f64_e32 v[6:7], v[6:7], v[20:21]
	v_cvt_f64_i32_e32 v[50:51], v2
	s_delay_alu instid0(VALU_DEP_2) | instskip(NEXT) | instid1(VALU_DEP_2)
	v_add_f64_e32 v[0:1], v[0:1], v[6:7]
	v_add_f64_e64 v[36:37], v[36:37], -v[50:51]
	s_delay_alu instid0(VALU_DEP_2) | instskip(NEXT) | instid1(VALU_DEP_2)
	v_add_f64_e32 v[0:1], v[32:33], v[0:1]
	v_add_f64_e32 v[20:21], v[42:43], v[36:37]
	s_delay_alu instid0(VALU_DEP_1) | instskip(SKIP_1) | instid1(VALU_DEP_2)
	v_add_f64_e64 v[6:7], v[20:21], -v[36:37]
	v_cmp_le_f64_e32 vcc_lo, 0.5, v[20:21]
	v_add_f64_e64 v[6:7], v[42:43], -v[6:7]
	v_cndmask_b32_e64 v41, 0, 0x3ff00000, vcc_lo
	v_add_co_ci_u32_e64 v42, null, 0, v2, vcc_lo
	s_delay_alu instid0(VALU_DEP_3) | instskip(NEXT) | instid1(VALU_DEP_3)
	v_add_f64_e32 v[0:1], v[0:1], v[6:7]
	v_add_f64_e64 v[6:7], v[20:21], -v[40:41]
	s_delay_alu instid0(VALU_DEP_1) | instskip(NEXT) | instid1(VALU_DEP_1)
	v_add_f64_e32 v[20:21], v[6:7], v[0:1]
	v_mul_f64_e32 v[32:33], 0x3ff921fb54442d18, v[20:21]
	v_add_f64_e64 v[6:7], v[20:21], -v[6:7]
	s_delay_alu instid0(VALU_DEP_2) | instskip(NEXT) | instid1(VALU_DEP_2)
	v_fma_f64 v[36:37], v[20:21], s[20:21], -v[32:33]
	v_add_f64_e64 v[0:1], v[0:1], -v[6:7]
	s_delay_alu instid0(VALU_DEP_2) | instskip(NEXT) | instid1(VALU_DEP_1)
	v_fmac_f64_e32 v[36:37], 0x3c91a62633145c07, v[20:21]
	v_fmac_f64_e32 v[36:37], 0x3ff921fb54442d18, v[0:1]
	s_delay_alu instid0(VALU_DEP_1) | instskip(NEXT) | instid1(VALU_DEP_1)
	v_add_f64_e32 v[34:35], v[32:33], v[36:37]
	v_add_f64_e64 v[0:1], v[34:35], -v[32:33]
	s_delay_alu instid0(VALU_DEP_1)
	v_add_f64_e64 v[38:39], v[36:37], -v[0:1]
                                        ; implicit-def: $vgpr36_vgpr37
	s_and_not1_saveexec_b32 s0, s0
	s_cbranch_execnz .LBB1_100
	s_branch .LBB1_101
.LBB1_99:                               ;   in Loop: Header=BB1_93 Depth=3
	s_and_not1_saveexec_b32 s0, s0
	s_cbranch_execz .LBB1_101
.LBB1_100:                              ;   in Loop: Header=BB1_93 Depth=3
	s_delay_alu instid0(VALU_DEP_1) | instskip(SKIP_2) | instid1(VALU_DEP_2)
	v_fma_f64 v[0:1], v[36:37], s[24:25], |v[14:15]|
	v_mul_f64_e32 v[6:7], 0xbc91a62633145c00, v[36:37]
	v_cvt_i32_f64_e32 v42, v[36:37]
	v_add_f64_e32 v[20:21], v[0:1], v[6:7]
	s_delay_alu instid0(VALU_DEP_1) | instskip(SKIP_1) | instid1(VALU_DEP_1)
	v_add_f64_e64 v[32:33], v[0:1], -v[20:21]
	v_fmamk_f64 v[0:1], v[36:37], 0xbc91a62633145c00, v[0:1]
	v_add_f64_e64 v[20:21], v[20:21], -v[0:1]
	s_delay_alu instid0(VALU_DEP_3) | instskip(SKIP_1) | instid1(VALU_DEP_2)
	v_add_f64_e32 v[32:33], v[32:33], v[6:7]
	v_fmamk_f64 v[6:7], v[36:37], 0x3c91a62633145c00, v[6:7]
	v_add_f64_e32 v[20:21], v[20:21], v[32:33]
	s_delay_alu instid0(VALU_DEP_1) | instskip(NEXT) | instid1(VALU_DEP_1)
	v_add_f64_e64 v[6:7], v[20:21], -v[6:7]
	v_fmac_f64_e32 v[6:7], 0xb97b839a252049c0, v[36:37]
	s_delay_alu instid0(VALU_DEP_1) | instskip(NEXT) | instid1(VALU_DEP_1)
	v_add_f64_e32 v[34:35], v[0:1], v[6:7]
	v_add_f64_e64 v[0:1], v[34:35], -v[0:1]
	s_delay_alu instid0(VALU_DEP_1)
	v_add_f64_e64 v[38:39], v[6:7], -v[0:1]
.LBB1_101:                              ;   in Loop: Header=BB1_93 Depth=3
	s_or_b32 exec_lo, exec_lo, s0
	scratch_load_b64 v[4:5], off, off offset:32 ; 8-byte Folded Reload
	v_mul_f64_e32 v[0:1], v[34:35], v[34:35]
	v_cmp_class_f64_e64 s0, v[14:15], 0x1f8
	v_mul_f64_e32 v[32:33], 0.5, v[38:39]
                                        ; implicit-def: $vgpr10
                                        ; implicit-def: $vgpr86_vgpr87
	v_and_b32_e32 v2, 1, v42
	s_delay_alu instid0(VALU_DEP_1) | instskip(SKIP_3) | instid1(VALU_DEP_1)
	v_cmp_eq_u32_e32 vcc_lo, 0, v2
	v_dual_mul_f64 v[6:7], 0.5, v[0:1] :: v_dual_lshlrev_b32 v2, 30, v42
	v_mul_f64_e64 v[36:37], v[34:35], -v[0:1]
	v_fmamk_f64 v[46:47], v[0:1], 0x3de5e0b2f9a43bb8, v[68:69]
	v_fmaak_f64 v[46:47], v[0:1], v[46:47], 0x3ec71de3796cde01
	s_delay_alu instid0(VALU_DEP_1) | instskip(NEXT) | instid1(VALU_DEP_1)
	v_fmaak_f64 v[46:47], v[0:1], v[46:47], 0xbf2a01a019e83e5c
	v_fmaak_f64 v[46:47], v[0:1], v[46:47], 0x3f81111111110bb3
	v_add_f64_e64 v[20:21], -v[6:7], 1.0
	s_delay_alu instid0(VALU_DEP_2) | instskip(SKIP_1) | instid1(VALU_DEP_3)
	v_fmac_f64_e32 v[32:33], v[36:37], v[46:47]
	v_mul_f64_e32 v[46:47], v[0:1], v[0:1]
	v_add_f64_e64 v[44:45], -v[20:21], 1.0
	s_delay_alu instid0(VALU_DEP_3) | instskip(NEXT) | instid1(VALU_DEP_2)
	v_fma_f64 v[32:33], v[0:1], v[32:33], -v[38:39]
	v_add_f64_e64 v[6:7], v[44:45], -v[6:7]
	v_fmamk_f64 v[44:45], v[0:1], 0xbda907db46cc5e42, v[64:65]
	s_delay_alu instid0(VALU_DEP_3) | instskip(NEXT) | instid1(VALU_DEP_3)
	v_fmac_f64_e32 v[32:33], 0xbfc5555555555555, v[36:37]
	v_fma_f64 v[6:7], v[34:35], -v[38:39], v[6:7]
	s_delay_alu instid0(VALU_DEP_3) | instskip(NEXT) | instid1(VALU_DEP_1)
	v_fmaak_f64 v[38:39], v[0:1], v[44:45], 0xbe927e4fa17f65f6
	v_fmaak_f64 v[38:39], v[0:1], v[38:39], 0x3efa01a019f4ec90
	s_delay_alu instid0(VALU_DEP_1) | instskip(NEXT) | instid1(VALU_DEP_1)
	v_fmaak_f64 v[38:39], v[0:1], v[38:39], 0xbf56c16c16c16967
	v_fmaak_f64 v[0:1], v[0:1], v[38:39], 0x3fa5555555555555
	s_delay_alu instid0(VALU_DEP_1) | instskip(SKIP_1) | instid1(VALU_DEP_2)
	v_fmac_f64_e32 v[6:7], v[46:47], v[0:1]
	v_add_f64_e64 v[0:1], v[34:35], -v[32:33]
                                        ; implicit-def: $vgpr46_vgpr47
	v_add_f64_e32 v[6:7], v[20:21], v[6:7]
	s_delay_alu instid0(VALU_DEP_2) | instskip(NEXT) | instid1(VALU_DEP_1)
	v_xor_b32_e32 v1, 0x80000000, v1
	v_dual_cndmask_b32 v1, v1, v7 :: v_dual_cndmask_b32 v0, v0, v6
	s_delay_alu instid0(VALU_DEP_1) | instskip(NEXT) | instid1(VALU_DEP_2)
	v_bitop3_b32 v1, v1, v2, 0x80000000 bitop3:0x78
	v_cndmask_b32_e64 v36, 0, v0, s0
	scratch_load_b64 v[2:3], off, off offset:88 ; 8-byte Folded Reload
	v_cndmask_b32_e64 v37, 0x7ff80000, v1, s0
	s_delay_alu instid0(VALU_DEP_1) | instskip(SKIP_2) | instid1(VALU_DEP_1)
	v_mul_f64_e32 v[0:1], v[36:37], v[36:37]
	s_wait_loadcnt 0x1
	v_mul_f64_e32 v[80:81], v[4:5], v[54:55]
	v_fmamk_f64 v[20:21], v[80:81], 0x3fc999999999999a, v[74:75]
	s_delay_alu instid0(VALU_DEP_1) | instskip(NEXT) | instid1(VALU_DEP_1)
	v_mul_f64_e32 v[34:35], v[20:21], v[20:21]
	v_fma_f64 v[42:43], v[8:9], v[0:1], v[34:35]
	s_delay_alu instid0(VALU_DEP_1) | instskip(SKIP_1) | instid1(VALU_DEP_2)
	v_div_scale_f64 v[0:1], null, v[42:43], v[42:43], 1.0
	v_div_scale_f64 v[38:39], vcc_lo, 1.0, v[42:43], 1.0
	v_rcp_f64_e32 v[6:7], v[0:1]
	v_nop
	s_delay_alu instid0(TRANS32_DEP_1) | instskip(NEXT) | instid1(VALU_DEP_1)
	v_fma_f64 v[32:33], -v[0:1], v[6:7], 1.0
	v_fmac_f64_e32 v[6:7], v[6:7], v[32:33]
	s_delay_alu instid0(VALU_DEP_1) | instskip(NEXT) | instid1(VALU_DEP_1)
	v_fma_f64 v[32:33], -v[0:1], v[6:7], 1.0
	v_fmac_f64_e32 v[6:7], v[6:7], v[32:33]
	s_delay_alu instid0(VALU_DEP_1) | instskip(NEXT) | instid1(VALU_DEP_1)
	v_mul_f64_e32 v[32:33], v[38:39], v[6:7]
	v_fma_f64 v[0:1], -v[0:1], v[32:33], v[38:39]
	s_delay_alu instid0(VALU_DEP_1) | instskip(NEXT) | instid1(VALU_DEP_1)
	v_div_fmas_f64 v[0:1], v[0:1], v[6:7], v[32:33]
	v_div_fixup_f64 v[38:39], v[0:1], v[42:43], 1.0
	scratch_load_b64 v[0:1], off, off       ; 8-byte Folded Reload
	s_wait_loadcnt 0x1
	v_mul_f64_e32 v[78:79], v[2:3], v[54:55]
	s_wait_loadcnt 0x0
	s_delay_alu instid0(VALU_DEP_1) | instskip(NEXT) | instid1(VALU_DEP_1)
	v_fmamk_f64 v[0:1], v[78:79], 0x3fc999999999999a, v[0:1]
	v_mul_f64_e64 v[0:1], v[38:39], -v[0:1]
	s_delay_alu instid0(VALU_DEP_1) | instskip(SKIP_3) | instid1(VALU_DEP_1)
	v_mul_f64_e32 v[96:97], v[54:55], v[0:1]
	scratch_load_b64 v[0:1], off, off offset:8 ; 8-byte Folded Reload
	s_wait_loadcnt 0x0
	v_fmamk_f64 v[0:1], v[52:53], 0x3fb3333333333333, v[0:1]
	v_fmac_f64_e32 v[0:1], 0x3fcccccccccccccd, v[96:97]
	s_delay_alu instid0(VALU_DEP_1)
	v_cmp_ngt_f64_e64 s2, 0x41d00000, |v[0:1]|
	v_trig_preop_f64 v[44:45], |v[0:1]|, 0
	v_trig_preop_f64 v[32:33], |v[0:1]|, 1
	v_ldexp_f64 v[56:57], |v[0:1]|, 0xffffff80
	v_trig_preop_f64 v[6:7], |v[0:1]|, 2
	v_and_b32_e32 v14, 0x7fffffff, v1
	s_wait_xcnt 0x0
	s_and_saveexec_b32 s33, s2
	s_delay_alu instid0(SALU_CYCLE_1)
	s_xor_b32 s33, exec_lo, s33
	s_cbranch_execz .LBB1_103
; %bb.102:                              ;   in Loop: Header=BB1_93 Depth=3
	v_cmp_le_f64_e64 vcc_lo, 0x7b000000, |v[0:1]|
	s_delay_alu instid0(VALU_DEP_4) | instskip(NEXT) | instid1(VALU_DEP_1)
	v_dual_cndmask_b32 v51, v14, v57 :: v_dual_cndmask_b32 v50, v0, v56
	v_mul_f64_e32 v[58:59], v[44:45], v[50:51]
	v_mul_f64_e32 v[46:47], v[32:33], v[50:51]
	;; [unrolled: 1-line block ×3, first 2 shown]
	s_delay_alu instid0(VALU_DEP_3) | instskip(NEXT) | instid1(VALU_DEP_1)
	v_fma_f64 v[60:61], v[44:45], v[50:51], -v[58:59]
	v_add_f64_e32 v[62:63], v[46:47], v[60:61]
	s_delay_alu instid0(VALU_DEP_1) | instskip(SKIP_1) | instid1(VALU_DEP_2)
	v_add_f64_e32 v[64:65], v[58:59], v[62:63]
	v_add_f64_e64 v[84:85], v[62:63], -v[46:47]
	v_ldexp_f64 v[48:49], v[64:65], -2
	s_delay_alu instid0(VALU_DEP_1) | instskip(NEXT) | instid1(VALU_DEP_3)
	v_cmp_neq_f64_e64 vcc_lo, 0x7ff00000, |v[48:49]|
	v_add_f64_e64 v[60:61], v[60:61], -v[84:85]
	v_add_f64_e64 v[84:85], v[62:63], -v[84:85]
	v_fract_f64_e32 v[82:83], v[48:49]
	s_delay_alu instid0(VALU_DEP_2) | instskip(NEXT) | instid1(VALU_DEP_1)
	v_add_f64_e64 v[84:85], v[46:47], -v[84:85]
	v_add_f64_e32 v[60:61], v[60:61], v[84:85]
	v_fma_f64 v[84:85], v[32:33], v[50:51], -v[46:47]
	v_add_f64_e64 v[46:47], v[64:65], -v[58:59]
	v_fma_f64 v[50:51], v[6:7], v[50:51], -v[86:87]
	s_delay_alu instid0(VALU_DEP_3) | instskip(NEXT) | instid1(VALU_DEP_3)
	v_add_f64_e32 v[88:89], v[86:87], v[84:85]
	v_add_f64_e64 v[58:59], v[62:63], -v[46:47]
	s_delay_alu instid0(VALU_DEP_2) | instskip(NEXT) | instid1(VALU_DEP_1)
	v_add_f64_e32 v[90:91], v[88:89], v[60:61]
	v_add_f64_e64 v[62:63], v[90:91], -v[88:89]
	s_delay_alu instid0(VALU_DEP_3) | instskip(NEXT) | instid1(VALU_DEP_2)
	v_add_f64_e32 v[46:47], v[58:59], v[90:91]
	v_add_f64_e64 v[60:61], v[60:61], -v[62:63]
	v_add_f64_e64 v[62:63], v[90:91], -v[62:63]
	s_delay_alu instid0(VALU_DEP_3) | instskip(NEXT) | instid1(VALU_DEP_2)
	v_add_f64_e64 v[58:59], v[46:47], -v[58:59]
	v_add_f64_e64 v[62:63], v[88:89], -v[62:63]
	s_delay_alu instid0(VALU_DEP_2) | instskip(NEXT) | instid1(VALU_DEP_2)
	v_add_f64_e64 v[58:59], v[90:91], -v[58:59]
	v_add_f64_e32 v[60:61], v[60:61], v[62:63]
	v_add_f64_e64 v[62:63], v[88:89], -v[86:87]
	s_delay_alu instid0(VALU_DEP_1) | instskip(SKIP_1) | instid1(VALU_DEP_1)
	v_add_f64_e64 v[64:65], v[84:85], -v[62:63]
	v_add_f64_e64 v[62:63], v[88:89], -v[62:63]
	;; [unrolled: 1-line block ×3, first 2 shown]
	s_delay_alu instid0(VALU_DEP_1) | instskip(NEXT) | instid1(VALU_DEP_1)
	v_add_f64_e32 v[62:63], v[64:65], v[62:63]
	v_add_f64_e32 v[60:61], v[62:63], v[60:61]
	s_delay_alu instid0(VALU_DEP_1) | instskip(NEXT) | instid1(VALU_DEP_1)
	v_add_f64_e32 v[50:51], v[50:51], v[60:61]
	v_add_f64_e32 v[50:51], v[58:59], v[50:51]
	v_ldexp_f64 v[58:59], v[82:83], 2
	s_delay_alu instid0(VALU_DEP_1) | instskip(NEXT) | instid1(VALU_DEP_1)
	v_dual_cndmask_b32 v49, 0, v59 :: v_dual_cndmask_b32 v48, 0, v58
	v_add_f64_e32 v[58:59], v[46:47], v[48:49]
	s_delay_alu instid0(VALU_DEP_1) | instskip(SKIP_1) | instid1(VALU_DEP_1)
	v_cmp_gt_f64_e32 vcc_lo, 0, v[58:59]
	v_cndmask_b32_e64 v41, 0, 0x40100000, vcc_lo
	v_add_f64_e32 v[48:49], v[48:49], v[40:41]
	s_delay_alu instid0(VALU_DEP_1) | instskip(NEXT) | instid1(VALU_DEP_1)
	v_add_f64_e32 v[58:59], v[46:47], v[48:49]
	v_cvt_i32_f64_e32 v2, v[58:59]
	s_delay_alu instid0(VALU_DEP_1) | instskip(NEXT) | instid1(VALU_DEP_1)
	v_cvt_f64_i32_e32 v[58:59], v2
	v_add_f64_e64 v[48:49], v[48:49], -v[58:59]
	s_delay_alu instid0(VALU_DEP_1) | instskip(NEXT) | instid1(VALU_DEP_1)
	v_add_f64_e32 v[58:59], v[46:47], v[48:49]
	v_add_f64_e64 v[48:49], v[58:59], -v[48:49]
	v_cmp_le_f64_e32 vcc_lo, 0.5, v[58:59]
	s_delay_alu instid0(VALU_DEP_2) | instskip(SKIP_2) | instid1(VALU_DEP_2)
	v_add_f64_e64 v[46:47], v[46:47], -v[48:49]
	v_cndmask_b32_e64 v41, 0, 0x3ff00000, vcc_lo
	v_add_co_ci_u32_e64 v10, null, 0, v2, vcc_lo
	v_add_f64_e64 v[48:49], v[58:59], -v[40:41]
	s_delay_alu instid0(VALU_DEP_4) | instskip(NEXT) | instid1(VALU_DEP_1)
	v_add_f64_e32 v[46:47], v[50:51], v[46:47]
	v_add_f64_e32 v[50:51], v[48:49], v[46:47]
	s_delay_alu instid0(VALU_DEP_1) | instskip(NEXT) | instid1(VALU_DEP_1)
	v_add_f64_e64 v[48:49], v[50:51], -v[48:49]
	v_add_f64_e64 v[46:47], v[46:47], -v[48:49]
	v_mul_f64_e32 v[48:49], 0x3ff921fb54442d18, v[50:51]
	s_delay_alu instid0(VALU_DEP_1) | instskip(NEXT) | instid1(VALU_DEP_1)
	v_fma_f64 v[58:59], v[50:51], s[20:21], -v[48:49]
	v_fmac_f64_e32 v[58:59], 0x3c91a62633145c07, v[50:51]
	s_delay_alu instid0(VALU_DEP_1) | instskip(NEXT) | instid1(VALU_DEP_1)
	v_fmac_f64_e32 v[58:59], 0x3ff921fb54442d18, v[46:47]
	v_add_f64_e32 v[46:47], v[48:49], v[58:59]
	s_delay_alu instid0(VALU_DEP_1) | instskip(NEXT) | instid1(VALU_DEP_1)
	v_add_f64_e64 v[48:49], v[46:47], -v[48:49]
	v_add_f64_e64 v[86:87], v[58:59], -v[48:49]
.LBB1_103:                              ;   in Loop: Header=BB1_93 Depth=3
	s_or_saveexec_b32 s33, s33
	v_mul_f64_e64 v[48:49], |v[0:1]|, s[22:23]
	s_delay_alu instid0(VALU_DEP_1)
	v_rndne_f64_e32 v[58:59], v[48:49]
	s_xor_b32 exec_lo, exec_lo, s33
	s_cbranch_execz .LBB1_105
; %bb.104:                              ;   in Loop: Header=BB1_93 Depth=3
	s_delay_alu instid0(VALU_DEP_1) | instskip(SKIP_2) | instid1(VALU_DEP_3)
	v_fma_f64 v[46:47], v[58:59], s[24:25], |v[0:1]|
	v_mul_f64_e32 v[48:49], 0xbc91a62633145c00, v[58:59]
	v_cvt_i32_f64_e32 v10, v[58:59]
	v_fmamk_f64 v[62:63], v[58:59], 0xbc91a62633145c00, v[46:47]
	s_delay_alu instid0(VALU_DEP_3) | instskip(NEXT) | instid1(VALU_DEP_1)
	v_add_f64_e32 v[50:51], v[46:47], v[48:49]
	v_add_f64_e64 v[60:61], v[46:47], -v[50:51]
	s_delay_alu instid0(VALU_DEP_3) | instskip(NEXT) | instid1(VALU_DEP_2)
	v_add_f64_e64 v[46:47], v[50:51], -v[62:63]
	v_add_f64_e32 v[50:51], v[60:61], v[48:49]
	v_fmamk_f64 v[48:49], v[58:59], 0x3c91a62633145c00, v[48:49]
	s_delay_alu instid0(VALU_DEP_2) | instskip(NEXT) | instid1(VALU_DEP_1)
	v_add_f64_e32 v[46:47], v[46:47], v[50:51]
	v_add_f64_e64 v[48:49], v[46:47], -v[48:49]
	s_delay_alu instid0(VALU_DEP_1) | instskip(NEXT) | instid1(VALU_DEP_1)
	v_fmac_f64_e32 v[48:49], 0xb97b839a252049c0, v[58:59]
	v_add_f64_e32 v[46:47], v[62:63], v[48:49]
	s_delay_alu instid0(VALU_DEP_1) | instskip(NEXT) | instid1(VALU_DEP_1)
	v_add_f64_e64 v[50:51], v[46:47], -v[62:63]
	v_add_f64_e64 v[86:87], v[48:49], -v[50:51]
.LBB1_105:                              ;   in Loop: Header=BB1_93 Depth=3
	s_or_b32 exec_lo, exec_lo, s33
                                        ; implicit-def: $vgpr60
                                        ; implicit-def: $vgpr48_vgpr49
                                        ; implicit-def: $vgpr50_vgpr51
	s_and_saveexec_b32 s33, s2
	s_delay_alu instid0(SALU_CYCLE_1)
	s_xor_b32 s2, exec_lo, s33
	s_cbranch_execz .LBB1_107
; %bb.106:                              ;   in Loop: Header=BB1_93 Depth=3
	v_cmp_le_f64_e64 vcc_lo, 0x7b000000, |v[0:1]|
	v_dual_cndmask_b32 v49, v14, v57 :: v_dual_cndmask_b32 v48, v0, v56
	s_delay_alu instid0(VALU_DEP_1) | instskip(SKIP_1) | instid1(VALU_DEP_2)
	v_mul_f64_e32 v[56:57], v[44:45], v[48:49]
	v_mul_f64_e32 v[50:51], v[32:33], v[48:49]
	v_fma_f64 v[58:59], v[44:45], v[48:49], -v[56:57]
	s_delay_alu instid0(VALU_DEP_1) | instskip(NEXT) | instid1(VALU_DEP_1)
	v_add_f64_e32 v[60:61], v[50:51], v[58:59]
	v_add_f64_e32 v[62:63], v[56:57], v[60:61]
	s_delay_alu instid0(VALU_DEP_1) | instskip(NEXT) | instid1(VALU_DEP_1)
	v_ldexp_f64 v[44:45], v[62:63], -2
	v_cmp_neq_f64_e64 vcc_lo, 0x7ff00000, |v[44:45]|
	v_add_f64_e64 v[82:83], v[60:61], -v[50:51]
	v_fract_f64_e32 v[64:65], v[44:45]
	s_delay_alu instid0(VALU_DEP_2) | instskip(SKIP_1) | instid1(VALU_DEP_1)
	v_add_f64_e64 v[58:59], v[58:59], -v[82:83]
	v_add_f64_e64 v[82:83], v[60:61], -v[82:83]
	v_add_f64_e64 v[82:83], v[50:51], -v[82:83]
	v_fma_f64 v[50:51], v[32:33], v[48:49], -v[50:51]
	v_add_f64_e64 v[32:33], v[62:63], -v[56:57]
	s_delay_alu instid0(VALU_DEP_3) | instskip(SKIP_1) | instid1(VALU_DEP_1)
	v_add_f64_e32 v[58:59], v[58:59], v[82:83]
	v_mul_f64_e32 v[82:83], v[6:7], v[48:49]
	v_add_f64_e32 v[84:85], v[82:83], v[50:51]
	v_fma_f64 v[6:7], v[6:7], v[48:49], -v[82:83]
	v_ldexp_f64 v[48:49], v[64:65], 2
	s_delay_alu instid0(VALU_DEP_1) | instskip(SKIP_1) | instid1(VALU_DEP_3)
	v_dual_add_f64 v[88:89], v[84:85], v[58:59] :: v_dual_cndmask_b32 v45, 0, v49, vcc_lo
	v_add_f64_e64 v[56:57], v[60:61], -v[32:33]
	v_cndmask_b32_e32 v44, 0, v48, vcc_lo
	s_delay_alu instid0(VALU_DEP_3) | instskip(NEXT) | instid1(VALU_DEP_3)
	v_add_f64_e64 v[60:61], v[88:89], -v[84:85]
	v_add_f64_e32 v[32:33], v[56:57], v[88:89]
	s_delay_alu instid0(VALU_DEP_2) | instskip(SKIP_1) | instid1(VALU_DEP_3)
	v_add_f64_e64 v[58:59], v[58:59], -v[60:61]
	v_add_f64_e64 v[60:61], v[88:89], -v[60:61]
	v_add_f64_e32 v[48:49], v[32:33], v[44:45]
	v_add_f64_e64 v[56:57], v[32:33], -v[56:57]
	s_delay_alu instid0(VALU_DEP_3) | instskip(NEXT) | instid1(VALU_DEP_3)
	v_add_f64_e64 v[60:61], v[84:85], -v[60:61]
	v_cmp_gt_f64_e32 vcc_lo, 0, v[48:49]
	s_delay_alu instid0(VALU_DEP_3) | instskip(NEXT) | instid1(VALU_DEP_3)
	v_add_f64_e64 v[56:57], v[88:89], -v[56:57]
	v_add_f64_e32 v[58:59], v[58:59], v[60:61]
	v_add_f64_e64 v[60:61], v[84:85], -v[82:83]
	v_cndmask_b32_e64 v41, 0, 0x40100000, vcc_lo
	s_delay_alu instid0(VALU_DEP_1) | instskip(NEXT) | instid1(VALU_DEP_3)
	v_add_f64_e32 v[44:45], v[44:45], v[40:41]
	v_add_f64_e64 v[50:51], v[50:51], -v[60:61]
	v_add_f64_e64 v[60:61], v[84:85], -v[60:61]
	s_delay_alu instid0(VALU_DEP_3) | instskip(NEXT) | instid1(VALU_DEP_2)
	v_add_f64_e32 v[48:49], v[32:33], v[44:45]
	v_add_f64_e64 v[60:61], v[82:83], -v[60:61]
	s_delay_alu instid0(VALU_DEP_2) | instskip(NEXT) | instid1(VALU_DEP_2)
	v_cvt_i32_f64_e32 v2, v[48:49]
	v_add_f64_e32 v[50:51], v[50:51], v[60:61]
	s_delay_alu instid0(VALU_DEP_2) | instskip(NEXT) | instid1(VALU_DEP_2)
	v_cvt_f64_i32_e32 v[48:49], v2
	v_add_f64_e32 v[50:51], v[50:51], v[58:59]
                                        ; implicit-def: $vgpr58_vgpr59
	s_delay_alu instid0(VALU_DEP_2) | instskip(NEXT) | instid1(VALU_DEP_2)
	v_add_f64_e64 v[44:45], v[44:45], -v[48:49]
	v_add_f64_e32 v[6:7], v[6:7], v[50:51]
	s_delay_alu instid0(VALU_DEP_2) | instskip(NEXT) | instid1(VALU_DEP_2)
	v_add_f64_e32 v[48:49], v[32:33], v[44:45]
	v_add_f64_e32 v[6:7], v[56:57], v[6:7]
	s_delay_alu instid0(VALU_DEP_2) | instskip(SKIP_1) | instid1(VALU_DEP_2)
	v_add_f64_e64 v[44:45], v[48:49], -v[44:45]
	v_cmp_le_f64_e32 vcc_lo, 0.5, v[48:49]
	v_add_f64_e64 v[32:33], v[32:33], -v[44:45]
	v_cndmask_b32_e64 v41, 0, 0x3ff00000, vcc_lo
	v_add_co_ci_u32_e64 v60, null, 0, v2, vcc_lo
	s_delay_alu instid0(VALU_DEP_3) | instskip(NEXT) | instid1(VALU_DEP_3)
	v_add_f64_e32 v[6:7], v[6:7], v[32:33]
	v_add_f64_e64 v[32:33], v[48:49], -v[40:41]
	s_delay_alu instid0(VALU_DEP_1) | instskip(NEXT) | instid1(VALU_DEP_1)
	v_add_f64_e32 v[44:45], v[32:33], v[6:7]
	v_add_f64_e64 v[32:33], v[44:45], -v[32:33]
	s_delay_alu instid0(VALU_DEP_1) | instskip(SKIP_1) | instid1(VALU_DEP_1)
	v_add_f64_e64 v[6:7], v[6:7], -v[32:33]
	v_mul_f64_e32 v[32:33], 0x3ff921fb54442d18, v[44:45]
	v_fma_f64 v[50:51], v[44:45], s[20:21], -v[32:33]
	s_delay_alu instid0(VALU_DEP_1) | instskip(NEXT) | instid1(VALU_DEP_1)
	v_fmac_f64_e32 v[50:51], 0x3c91a62633145c07, v[44:45]
	v_fmac_f64_e32 v[50:51], 0x3ff921fb54442d18, v[6:7]
	s_delay_alu instid0(VALU_DEP_1) | instskip(NEXT) | instid1(VALU_DEP_1)
	v_add_f64_e32 v[48:49], v[32:33], v[50:51]
	v_add_f64_e64 v[6:7], v[48:49], -v[32:33]
	s_delay_alu instid0(VALU_DEP_1)
	v_add_f64_e64 v[50:51], v[50:51], -v[6:7]
	s_and_not1_saveexec_b32 s2, s2
	s_cbranch_execnz .LBB1_108
	s_branch .LBB1_109
.LBB1_107:                              ;   in Loop: Header=BB1_93 Depth=3
	s_and_not1_saveexec_b32 s2, s2
	s_cbranch_execz .LBB1_109
.LBB1_108:                              ;   in Loop: Header=BB1_93 Depth=3
	s_delay_alu instid0(VALU_DEP_1) | instskip(SKIP_2) | instid1(VALU_DEP_2)
	v_fma_f64 v[6:7], v[58:59], s[24:25], |v[0:1]|
	v_mul_f64_e32 v[32:33], 0xbc91a62633145c00, v[58:59]
	v_cvt_i32_f64_e32 v60, v[58:59]
	v_add_f64_e32 v[44:45], v[6:7], v[32:33]
	s_delay_alu instid0(VALU_DEP_1) | instskip(SKIP_1) | instid1(VALU_DEP_1)
	v_add_f64_e64 v[48:49], v[6:7], -v[44:45]
	v_fmamk_f64 v[6:7], v[58:59], 0xbc91a62633145c00, v[6:7]
	v_add_f64_e64 v[44:45], v[44:45], -v[6:7]
	s_delay_alu instid0(VALU_DEP_3) | instskip(SKIP_1) | instid1(VALU_DEP_2)
	v_add_f64_e32 v[48:49], v[48:49], v[32:33]
	v_fmamk_f64 v[32:33], v[58:59], 0x3c91a62633145c00, v[32:33]
	v_add_f64_e32 v[44:45], v[44:45], v[48:49]
	s_delay_alu instid0(VALU_DEP_1) | instskip(NEXT) | instid1(VALU_DEP_1)
	v_add_f64_e64 v[32:33], v[44:45], -v[32:33]
	v_fmac_f64_e32 v[32:33], 0xb97b839a252049c0, v[58:59]
	s_delay_alu instid0(VALU_DEP_1) | instskip(NEXT) | instid1(VALU_DEP_1)
	v_add_f64_e32 v[48:49], v[6:7], v[32:33]
	v_add_f64_e64 v[6:7], v[48:49], -v[6:7]
	s_delay_alu instid0(VALU_DEP_1)
	v_add_f64_e64 v[50:51], v[32:33], -v[6:7]
.LBB1_109:                              ;   in Loop: Header=BB1_93 Depth=3
	s_or_b32 exec_lo, exec_lo, s2
	scratch_load_b64 v[2:3], off, off offset:8 ; 8-byte Folded Reload
	v_dual_mul_f64 v[32:33], v[16:17], v[16:17] :: v_dual_lshlrev_b32 v4, 30, v11
	v_mov_b64_e32 v[22:23], 0xbe5ae600b42fdfa7
	v_mul_f64_e32 v[62:63], 0.5, v[18:19]
	v_mov_b64_e32 v[12:13], 0x3e21eeb69037ab78
	v_fmamk_f64 v[100:101], v[80:81], 0x3fb3333333333333, v[74:75]
                                        ; implicit-def: $vgpr110_vgpr111
                                        ; implicit-def: $vgpr120_vgpr121
	v_xor_b32_e32 v4, v4, v15
	v_mul_f64_e64 v[56:57], v[16:17], -v[32:33]
	v_fmamk_f64 v[58:59], v[32:33], 0x3de5e0b2f9a43bb8, v[22:23]
	v_fmamk_f64 v[84:85], v[32:33], 0xbda907db46cc5e42, v[12:13]
	v_mul_f64_e32 v[64:65], v[32:33], v[32:33]
	s_delay_alu instid0(VALU_DEP_3) | instskip(NEXT) | instid1(VALU_DEP_3)
	v_fmaak_f64 v[58:59], v[32:33], v[58:59], 0x3ec71de3796cde01
	v_fmaak_f64 v[84:85], v[32:33], v[84:85], 0xbe927e4fa17f65f6
	s_delay_alu instid0(VALU_DEP_2) | instskip(NEXT) | instid1(VALU_DEP_2)
	v_fmaak_f64 v[58:59], v[32:33], v[58:59], 0xbf2a01a019e83e5c
	v_fmaak_f64 v[84:85], v[32:33], v[84:85], 0x3efa01a019f4ec90
	s_delay_alu instid0(VALU_DEP_2) | instskip(NEXT) | instid1(VALU_DEP_2)
	v_fmaak_f64 v[58:59], v[32:33], v[58:59], 0x3f81111111110bb3
	v_fmaak_f64 v[84:85], v[32:33], v[84:85], 0xbf56c16c16c16967
	s_delay_alu instid0(VALU_DEP_2) | instskip(NEXT) | instid1(VALU_DEP_1)
	v_fmac_f64_e32 v[62:63], v[56:57], v[58:59]
	v_fma_f64 v[58:59], v[32:33], v[62:63], -v[18:19]
	s_delay_alu instid0(VALU_DEP_1) | instskip(NEXT) | instid1(VALU_DEP_1)
	v_fmac_f64_e32 v[58:59], 0xbfc5555555555555, v[56:57]
	v_add_f64_e64 v[56:57], v[16:17], -v[58:59]
	v_mul_f64_e32 v[58:59], 0.5, v[32:33]
	v_fmaak_f64 v[32:33], v[32:33], v[84:85], 0x3fa5555555555555
	s_delay_alu instid0(VALU_DEP_2) | instskip(NEXT) | instid1(VALU_DEP_1)
	v_add_f64_e64 v[62:63], -v[58:59], 1.0
	v_add_f64_e64 v[84:85], -v[62:63], 1.0
	s_delay_alu instid0(VALU_DEP_1) | instskip(NEXT) | instid1(VALU_DEP_1)
	v_add_f64_e64 v[58:59], v[84:85], -v[58:59]
	v_fma_f64 v[16:17], v[16:17], -v[18:19], v[58:59]
	s_wait_loadcnt 0x0
	v_fmamk_f64 v[98:99], v[52:53], 0x3fd3333333333333, v[2:3]
	scratch_load_b64 v[2:3], off, off offset:80 ; 8-byte Folded Reload
	v_fmac_f64_e32 v[16:17], v[64:65], v[32:33]
	v_fmac_f64_e32 v[98:99], 0xbfeccccccccccccd, v[96:97]
	s_delay_alu instid0(VALU_DEP_2)
	v_add_f64_e32 v[16:17], v[62:63], v[16:17]
	s_wait_loadcnt 0x0
	v_mul_f64_e64 v[82:83], v[54:55], -v[2:3]
	scratch_load_b64 v[2:3], off, off       ; 8-byte Folded Reload
	s_wait_loadcnt 0x0
	v_fmamk_f64 v[44:45], v[78:79], 0x3fb3333333333333, v[2:3]
	v_and_b32_e32 v2, 1, v11
                                        ; implicit-def: $vgpr11
	s_delay_alu instid0(VALU_DEP_1) | instskip(SKIP_1) | instid1(VALU_DEP_1)
	v_cmp_eq_u32_e32 vcc_lo, 0, v2
	v_cndmask_b32_e32 v3, v17, v57, vcc_lo
	v_bitop3_b32 v3, v3, v4, 0x80000000 bitop3:0x78
	s_delay_alu instid0(VALU_DEP_1) | instskip(SKIP_3) | instid1(VALU_DEP_2)
	v_cndmask_b32_e64 v17, 0x7ff80000, v3, s0
	v_lshlrev_b32_e32 v3, 30, v60
	v_cndmask_b32_e32 v2, v16, v56, vcc_lo
	v_fmamk_f64 v[6:7], v[82:83], 0x3fc999999999999a, v[126:127]
	v_dual_cndmask_b32 v16, 0, v2, s0 :: v_dual_bitop2_b32 v2, 1, v60 bitop3:0x40
	v_cmp_class_f64_e64 s0, v[0:1], 0x1f8
	s_delay_alu instid0(VALU_DEP_2) | instskip(SKIP_1) | instid1(VALU_DEP_2)
	v_mul_f64_e32 v[14:15], v[16:17], v[16:17]
	v_cmp_gt_f64_e32 vcc_lo, s[26:27], v[16:17]
	v_cndmask_b32_e64 v19, v15, 0x3c9cd2b2, vcc_lo
	s_delay_alu instid0(VALU_DEP_3) | instskip(SKIP_3) | instid1(VALU_DEP_4)
	v_cndmask_b32_e64 v18, v14, 0x97d889bc, vcc_lo
	v_cndmask_b32_e64 v17, v17, 0x3e45798e, vcc_lo
	;; [unrolled: 1-line block ×3, first 2 shown]
	v_fma_f64 v[14:15], -2.0, v[20:21], v[34:35]
	v_mul_f64_e32 v[18:19], v[18:19], v[18:19]
	s_delay_alu instid0(VALU_DEP_3) | instskip(NEXT) | instid1(VALU_DEP_3)
	v_mul_f64_e64 v[16:17], -v[16:17], v[36:37]
	v_add_f64_e32 v[14:15], v[8:9], v[14:15]
	s_delay_alu instid0(VALU_DEP_3) | instskip(NEXT) | instid1(VALU_DEP_1)
	v_div_scale_f64 v[36:37], null, v[18:19], v[18:19], v[28:29]
	v_rcp_f64_e32 v[56:57], v[36:37]
	v_nop
	s_delay_alu instid0(TRANS32_DEP_1) | instskip(NEXT) | instid1(VALU_DEP_1)
	v_fma_f64 v[58:59], -v[36:37], v[56:57], 1.0
	v_fmac_f64_e32 v[56:57], v[56:57], v[58:59]
	s_delay_alu instid0(VALU_DEP_1) | instskip(NEXT) | instid1(VALU_DEP_1)
	v_fma_f64 v[58:59], -v[36:37], v[56:57], 1.0
	v_fmac_f64_e32 v[56:57], v[56:57], v[58:59]
	v_div_scale_f64 v[58:59], vcc_lo, v[28:29], v[18:19], v[28:29]
	s_delay_alu instid0(VALU_DEP_1) | instskip(NEXT) | instid1(VALU_DEP_1)
	v_mul_f64_e32 v[62:63], v[58:59], v[56:57]
	v_fma_f64 v[36:37], -v[36:37], v[62:63], v[58:59]
	s_delay_alu instid0(VALU_DEP_1) | instskip(SKIP_2) | instid1(VALU_DEP_3)
	v_div_fmas_f64 v[36:37], v[36:37], v[56:57], v[62:63]
	v_cmp_eq_u32_e32 vcc_lo, 0, v2
	v_mul_f64_e64 v[32:33], v[14:15], -v[6:7]
	v_div_fixup_f64 v[18:19], v[36:37], v[18:19], v[28:29]
	s_delay_alu instid0(VALU_DEP_2) | instskip(NEXT) | instid1(VALU_DEP_2)
	v_mul_f64_e32 v[32:33], v[32:33], v[38:39]
	v_add_f64_e64 v[18:19], v[18:19], -v[8:9]
	s_delay_alu instid0(VALU_DEP_2) | instskip(NEXT) | instid1(VALU_DEP_2)
	v_mul_f64_e32 v[92:93], v[54:55], v[32:33]
	v_mul_f64_e32 v[16:17], v[18:19], v[16:17]
	;; [unrolled: 1-line block ×3, first 2 shown]
	s_delay_alu instid0(VALU_DEP_3) | instskip(NEXT) | instid1(VALU_DEP_3)
	v_fmac_f64_e32 v[100:101], 0x3fcccccccccccccd, v[92:93]
	v_mul_f64_e32 v[16:17], v[16:17], v[38:39]
	s_delay_alu instid0(VALU_DEP_3) | instskip(NEXT) | instid1(VALU_DEP_3)
	v_fmamk_f64 v[56:57], v[18:19], 0xbda907db46cc5e42, v[12:13]
	v_mul_f64_e32 v[108:109], v[100:101], v[100:101]
	s_delay_alu instid0(VALU_DEP_2) | instskip(NEXT) | instid1(VALU_DEP_1)
	v_fmaak_f64 v[56:57], v[18:19], v[56:57], 0xbe927e4fa17f65f6
	v_fmaak_f64 v[56:57], v[18:19], v[56:57], 0x3efa01a019f4ec90
	s_delay_alu instid0(VALU_DEP_1) | instskip(NEXT) | instid1(VALU_DEP_1)
	v_fmaak_f64 v[56:57], v[18:19], v[56:57], 0xbf56c16c16c16967
	v_fmaak_f64 v[56:57], v[18:19], v[56:57], 0x3fa5555555555555
	v_mul_f64_e32 v[94:95], v[54:55], v[16:17]
	v_mul_f64_e32 v[16:17], 0.5, v[18:19]
	s_delay_alu instid0(VALU_DEP_2) | instskip(NEXT) | instid1(VALU_DEP_2)
	v_fmac_f64_e32 v[44:45], 0x3fcccccccccccccd, v[94:95]
	v_add_f64_e64 v[32:33], -v[16:17], 1.0
	s_delay_alu instid0(VALU_DEP_1) | instskip(NEXT) | instid1(VALU_DEP_1)
	v_add_f64_e64 v[36:37], -v[32:33], 1.0
	v_add_f64_e64 v[16:17], v[36:37], -v[16:17]
	v_mul_f64_e32 v[36:37], v[18:19], v[18:19]
	s_delay_alu instid0(VALU_DEP_2) | instskip(NEXT) | instid1(VALU_DEP_1)
	v_fma_f64 v[16:17], v[48:49], -v[50:51], v[16:17]
	v_fmac_f64_e32 v[16:17], v[36:37], v[56:57]
	v_mul_f64_e32 v[56:57], 0.5, v[50:51]
	s_delay_alu instid0(VALU_DEP_2) | instskip(SKIP_1) | instid1(VALU_DEP_1)
	v_add_f64_e32 v[16:17], v[32:33], v[16:17]
	v_fmamk_f64 v[32:33], v[18:19], 0x3de5e0b2f9a43bb8, v[22:23]
	v_fmaak_f64 v[32:33], v[18:19], v[32:33], 0x3ec71de3796cde01
	s_delay_alu instid0(VALU_DEP_1) | instskip(NEXT) | instid1(VALU_DEP_1)
	v_fmaak_f64 v[32:33], v[18:19], v[32:33], 0xbf2a01a019e83e5c
	v_fmaak_f64 v[36:37], v[18:19], v[32:33], 0x3f81111111110bb3
	v_mul_f64_e64 v[32:33], v[48:49], -v[18:19]
	s_delay_alu instid0(VALU_DEP_1) | instskip(NEXT) | instid1(VALU_DEP_1)
	v_fmac_f64_e32 v[56:57], v[32:33], v[36:37]
	v_fma_f64 v[18:19], v[18:19], v[56:57], -v[50:51]
	s_delay_alu instid0(VALU_DEP_1) | instskip(NEXT) | instid1(VALU_DEP_1)
	v_fmac_f64_e32 v[18:19], 0xbfc5555555555555, v[32:33]
	v_add_f64_e64 v[18:19], v[48:49], -v[18:19]
	s_delay_alu instid0(VALU_DEP_1) | instskip(NEXT) | instid1(VALU_DEP_1)
	v_xor_b32_e32 v0, 0x80000000, v19
	v_dual_cndmask_b32 v2, v18, v16, vcc_lo :: v_dual_cndmask_b32 v0, v0, v17, vcc_lo
	s_delay_alu instid0(VALU_DEP_1) | instskip(NEXT) | instid1(VALU_DEP_2)
	v_cndmask_b32_e64 v16, 0, v2, s0
	v_bitop3_b32 v0, v0, v3, 0x80000000 bitop3:0x78
	s_delay_alu instid0(VALU_DEP_1) | instskip(NEXT) | instid1(VALU_DEP_1)
	v_cndmask_b32_e64 v17, 0x7ff80000, v0, s0
	v_mul_f64_e32 v[18:19], v[16:17], v[16:17]
	s_delay_alu instid0(VALU_DEP_1) | instskip(NEXT) | instid1(VALU_DEP_1)
	v_fma_f64 v[102:103], v[8:9], v[18:19], v[108:109]
	v_div_scale_f64 v[18:19], null, v[102:103], v[102:103], 1.0
	s_delay_alu instid0(VALU_DEP_1) | instskip(SKIP_1) | instid1(TRANS32_DEP_1)
	v_rcp_f64_e32 v[32:33], v[18:19]
	v_nop
	v_fma_f64 v[36:37], -v[18:19], v[32:33], 1.0
	s_delay_alu instid0(VALU_DEP_1) | instskip(NEXT) | instid1(VALU_DEP_1)
	v_fmac_f64_e32 v[32:33], v[32:33], v[36:37]
	v_fma_f64 v[36:37], -v[18:19], v[32:33], 1.0
	s_delay_alu instid0(VALU_DEP_1) | instskip(SKIP_1) | instid1(VALU_DEP_1)
	v_fmac_f64_e32 v[32:33], v[32:33], v[36:37]
	v_div_scale_f64 v[36:37], vcc_lo, 1.0, v[102:103], 1.0
	v_mul_f64_e32 v[48:49], v[36:37], v[32:33]
	s_delay_alu instid0(VALU_DEP_1) | instskip(NEXT) | instid1(VALU_DEP_1)
	v_fma_f64 v[18:19], -v[18:19], v[48:49], v[36:37]
	v_div_fmas_f64 v[18:19], v[18:19], v[32:33], v[48:49]
	s_delay_alu instid0(VALU_DEP_1) | instskip(NEXT) | instid1(VALU_DEP_1)
	v_div_fixup_f64 v[36:37], v[18:19], v[102:103], 1.0
	v_mul_f64_e64 v[18:19], v[36:37], -v[44:45]
	s_delay_alu instid0(VALU_DEP_1) | instskip(NEXT) | instid1(VALU_DEP_1)
	v_mul_f64_e32 v[84:85], v[54:55], v[18:19]
	v_fmac_f64_e32 v[98:99], 0x3ff3333333333333, v[84:85]
	s_delay_alu instid0(VALU_DEP_1)
	v_cmp_ngt_f64_e64 s2, 0x41d00000, |v[98:99]|
	v_trig_preop_f64 v[50:51], |v[98:99]|, 0
	v_trig_preop_f64 v[32:33], |v[98:99]|, 1
	v_ldexp_f64 v[56:57], |v[98:99]|, 0xffffff80
	v_trig_preop_f64 v[18:19], |v[98:99]|, 2
	v_and_b32_e32 v0, 0x7fffffff, v99
	s_wait_xcnt 0x0
	s_and_saveexec_b32 s33, s2
	s_delay_alu instid0(SALU_CYCLE_1)
	s_xor_b32 s33, exec_lo, s33
	s_cbranch_execz .LBB1_111
; %bb.110:                              ;   in Loop: Header=BB1_93 Depth=3
	v_cmp_le_f64_e64 vcc_lo, 0x7b000000, |v[98:99]|
	s_delay_alu instid0(VALU_DEP_4) | instskip(NEXT) | instid1(VALU_DEP_1)
	v_dual_cndmask_b32 v59, v0, v57 :: v_dual_cndmask_b32 v58, v98, v56
	v_mul_f64_e32 v[60:61], v[50:51], v[58:59]
	v_mul_f64_e32 v[44:45], v[32:33], v[58:59]
	v_mul_f64_e32 v[106:107], v[18:19], v[58:59]
	s_delay_alu instid0(VALU_DEP_3) | instskip(NEXT) | instid1(VALU_DEP_1)
	v_fma_f64 v[62:63], v[50:51], v[58:59], -v[60:61]
	v_add_f64_e32 v[64:65], v[44:45], v[62:63]
	s_delay_alu instid0(VALU_DEP_1) | instskip(SKIP_1) | instid1(VALU_DEP_2)
	v_add_f64_e64 v[104:105], v[64:65], -v[44:45]
	v_add_f64_e32 v[88:89], v[60:61], v[64:65]
	v_add_f64_e64 v[62:63], v[62:63], -v[104:105]
	v_add_f64_e64 v[104:105], v[64:65], -v[104:105]
	s_delay_alu instid0(VALU_DEP_3) | instskip(NEXT) | instid1(VALU_DEP_2)
	v_ldexp_f64 v[48:49], v[88:89], -2
	v_add_f64_e64 v[104:105], v[44:45], -v[104:105]
	s_delay_alu instid0(VALU_DEP_2) | instskip(SKIP_1) | instid1(VALU_DEP_3)
	v_fract_f64_e32 v[90:91], v[48:49]
	v_cmp_neq_f64_e64 vcc_lo, 0x7ff00000, |v[48:49]|
	v_add_f64_e32 v[62:63], v[62:63], v[104:105]
	v_fma_f64 v[104:105], v[32:33], v[58:59], -v[44:45]
	v_add_f64_e64 v[44:45], v[88:89], -v[60:61]
	v_fma_f64 v[58:59], v[18:19], v[58:59], -v[106:107]
	s_delay_alu instid0(VALU_DEP_3) | instskip(NEXT) | instid1(VALU_DEP_3)
	v_add_f64_e32 v[110:111], v[106:107], v[104:105]
	v_add_f64_e64 v[60:61], v[64:65], -v[44:45]
	s_delay_alu instid0(VALU_DEP_2) | instskip(NEXT) | instid1(VALU_DEP_1)
	v_add_f64_e32 v[112:113], v[110:111], v[62:63]
	v_add_f64_e64 v[64:65], v[112:113], -v[110:111]
	s_delay_alu instid0(VALU_DEP_3) | instskip(NEXT) | instid1(VALU_DEP_2)
	v_add_f64_e32 v[44:45], v[60:61], v[112:113]
	v_add_f64_e64 v[62:63], v[62:63], -v[64:65]
	v_add_f64_e64 v[64:65], v[112:113], -v[64:65]
	s_delay_alu instid0(VALU_DEP_3) | instskip(NEXT) | instid1(VALU_DEP_2)
	v_add_f64_e64 v[60:61], v[44:45], -v[60:61]
	v_add_f64_e64 v[64:65], v[110:111], -v[64:65]
	s_delay_alu instid0(VALU_DEP_2) | instskip(NEXT) | instid1(VALU_DEP_2)
	v_add_f64_e64 v[60:61], v[112:113], -v[60:61]
	v_add_f64_e32 v[62:63], v[62:63], v[64:65]
	v_add_f64_e64 v[64:65], v[110:111], -v[106:107]
	s_delay_alu instid0(VALU_DEP_1) | instskip(SKIP_1) | instid1(VALU_DEP_1)
	v_add_f64_e64 v[88:89], v[104:105], -v[64:65]
	v_add_f64_e64 v[64:65], v[110:111], -v[64:65]
	;; [unrolled: 1-line block ×3, first 2 shown]
	s_delay_alu instid0(VALU_DEP_1) | instskip(NEXT) | instid1(VALU_DEP_1)
	v_add_f64_e32 v[64:65], v[88:89], v[64:65]
	v_add_f64_e32 v[62:63], v[64:65], v[62:63]
	s_delay_alu instid0(VALU_DEP_1) | instskip(NEXT) | instid1(VALU_DEP_1)
	v_add_f64_e32 v[58:59], v[58:59], v[62:63]
	v_add_f64_e32 v[58:59], v[60:61], v[58:59]
	v_ldexp_f64 v[60:61], v[90:91], 2
	s_delay_alu instid0(VALU_DEP_1) | instskip(NEXT) | instid1(VALU_DEP_1)
	v_dual_cndmask_b32 v49, 0, v61 :: v_dual_cndmask_b32 v48, 0, v60
	v_add_f64_e32 v[60:61], v[44:45], v[48:49]
	s_delay_alu instid0(VALU_DEP_1) | instskip(SKIP_1) | instid1(VALU_DEP_1)
	v_cmp_gt_f64_e32 vcc_lo, 0, v[60:61]
	v_cndmask_b32_e64 v41, 0, 0x40100000, vcc_lo
	v_add_f64_e32 v[48:49], v[48:49], v[40:41]
	s_delay_alu instid0(VALU_DEP_1) | instskip(NEXT) | instid1(VALU_DEP_1)
	v_add_f64_e32 v[60:61], v[44:45], v[48:49]
	v_cvt_i32_f64_e32 v2, v[60:61]
	s_delay_alu instid0(VALU_DEP_1) | instskip(NEXT) | instid1(VALU_DEP_1)
	v_cvt_f64_i32_e32 v[60:61], v2
	v_add_f64_e64 v[48:49], v[48:49], -v[60:61]
	s_delay_alu instid0(VALU_DEP_1) | instskip(NEXT) | instid1(VALU_DEP_1)
	v_add_f64_e32 v[60:61], v[44:45], v[48:49]
	v_add_f64_e64 v[48:49], v[60:61], -v[48:49]
	v_cmp_le_f64_e32 vcc_lo, 0.5, v[60:61]
	s_delay_alu instid0(VALU_DEP_2) | instskip(SKIP_2) | instid1(VALU_DEP_2)
	v_add_f64_e64 v[44:45], v[44:45], -v[48:49]
	v_cndmask_b32_e64 v41, 0, 0x3ff00000, vcc_lo
	v_add_co_ci_u32_e64 v11, null, 0, v2, vcc_lo
	v_add_f64_e64 v[48:49], v[60:61], -v[40:41]
	s_delay_alu instid0(VALU_DEP_4) | instskip(NEXT) | instid1(VALU_DEP_1)
	v_add_f64_e32 v[44:45], v[58:59], v[44:45]
	v_add_f64_e32 v[58:59], v[48:49], v[44:45]
	s_delay_alu instid0(VALU_DEP_1) | instskip(NEXT) | instid1(VALU_DEP_1)
	v_add_f64_e64 v[48:49], v[58:59], -v[48:49]
	v_add_f64_e64 v[44:45], v[44:45], -v[48:49]
	v_mul_f64_e32 v[48:49], 0x3ff921fb54442d18, v[58:59]
	s_delay_alu instid0(VALU_DEP_1) | instskip(NEXT) | instid1(VALU_DEP_1)
	v_fma_f64 v[60:61], v[58:59], s[20:21], -v[48:49]
	v_fmac_f64_e32 v[60:61], 0x3c91a62633145c07, v[58:59]
	s_delay_alu instid0(VALU_DEP_1) | instskip(NEXT) | instid1(VALU_DEP_1)
	v_fmac_f64_e32 v[60:61], 0x3ff921fb54442d18, v[44:45]
	v_add_f64_e32 v[110:111], v[48:49], v[60:61]
	s_delay_alu instid0(VALU_DEP_1) | instskip(NEXT) | instid1(VALU_DEP_1)
	v_add_f64_e64 v[44:45], v[110:111], -v[48:49]
	v_add_f64_e64 v[120:121], v[60:61], -v[44:45]
.LBB1_111:                              ;   in Loop: Header=BB1_93 Depth=3
	s_or_saveexec_b32 s33, s33
	v_mul_f64_e64 v[44:45], |v[98:99]|, s[22:23]
	s_delay_alu instid0(VALU_DEP_1)
	v_rndne_f64_e32 v[58:59], v[44:45]
	s_xor_b32 exec_lo, exec_lo, s33
	s_cbranch_execz .LBB1_113
; %bb.112:                              ;   in Loop: Header=BB1_93 Depth=3
	s_delay_alu instid0(VALU_DEP_1) | instskip(SKIP_2) | instid1(VALU_DEP_2)
	v_fma_f64 v[44:45], v[58:59], s[24:25], |v[98:99]|
	v_mul_f64_e32 v[48:49], 0xbc91a62633145c00, v[58:59]
	v_cvt_i32_f64_e32 v11, v[58:59]
	v_add_f64_e32 v[60:61], v[44:45], v[48:49]
	s_delay_alu instid0(VALU_DEP_1) | instskip(SKIP_1) | instid1(VALU_DEP_1)
	v_add_f64_e64 v[62:63], v[44:45], -v[60:61]
	v_fmamk_f64 v[44:45], v[58:59], 0xbc91a62633145c00, v[44:45]
	v_add_f64_e64 v[60:61], v[60:61], -v[44:45]
	s_delay_alu instid0(VALU_DEP_3) | instskip(SKIP_1) | instid1(VALU_DEP_2)
	v_add_f64_e32 v[62:63], v[62:63], v[48:49]
	v_fmamk_f64 v[48:49], v[58:59], 0x3c91a62633145c00, v[48:49]
	v_add_f64_e32 v[60:61], v[60:61], v[62:63]
	s_delay_alu instid0(VALU_DEP_1) | instskip(NEXT) | instid1(VALU_DEP_1)
	v_add_f64_e64 v[48:49], v[60:61], -v[48:49]
	v_fmac_f64_e32 v[48:49], 0xb97b839a252049c0, v[58:59]
	s_delay_alu instid0(VALU_DEP_1) | instskip(NEXT) | instid1(VALU_DEP_1)
	v_add_f64_e32 v[110:111], v[44:45], v[48:49]
	v_add_f64_e64 v[44:45], v[110:111], -v[44:45]
	s_delay_alu instid0(VALU_DEP_1)
	v_add_f64_e64 v[120:121], v[48:49], -v[44:45]
.LBB1_113:                              ;   in Loop: Header=BB1_93 Depth=3
	s_or_b32 exec_lo, exec_lo, s33
                                        ; implicit-def: $vgpr60
                                        ; implicit-def: $vgpr44_vgpr45
                                        ; implicit-def: $vgpr48_vgpr49
	s_and_saveexec_b32 s33, s2
	s_delay_alu instid0(SALU_CYCLE_1)
	s_xor_b32 s2, exec_lo, s33
	s_cbranch_execz .LBB1_115
; %bb.114:                              ;   in Loop: Header=BB1_93 Depth=3
	v_cmp_le_f64_e64 vcc_lo, 0x7b000000, |v[98:99]|
	v_dual_cndmask_b32 v49, v0, v57 :: v_dual_cndmask_b32 v48, v98, v56
	s_delay_alu instid0(VALU_DEP_1) | instskip(SKIP_1) | instid1(VALU_DEP_2)
	v_mul_f64_e32 v[58:59], v[50:51], v[48:49]
	v_mul_f64_e32 v[56:57], v[32:33], v[48:49]
	v_fma_f64 v[50:51], v[50:51], v[48:49], -v[58:59]
	s_delay_alu instid0(VALU_DEP_1) | instskip(NEXT) | instid1(VALU_DEP_1)
	v_add_f64_e32 v[60:61], v[56:57], v[50:51]
	v_add_f64_e64 v[88:89], v[60:61], -v[56:57]
	v_add_f64_e32 v[62:63], v[58:59], v[60:61]
	s_delay_alu instid0(VALU_DEP_2) | instskip(SKIP_1) | instid1(VALU_DEP_3)
	v_add_f64_e64 v[50:51], v[50:51], -v[88:89]
	v_add_f64_e64 v[88:89], v[60:61], -v[88:89]
	v_ldexp_f64 v[44:45], v[62:63], -2
	s_delay_alu instid0(VALU_DEP_2) | instskip(NEXT) | instid1(VALU_DEP_2)
	v_add_f64_e64 v[88:89], v[56:57], -v[88:89]
	v_fract_f64_e32 v[64:65], v[44:45]
	v_fma_f64 v[56:57], v[32:33], v[48:49], -v[56:57]
	v_add_f64_e64 v[32:33], v[62:63], -v[58:59]
	v_cmp_neq_f64_e64 vcc_lo, 0x7ff00000, |v[44:45]|
	v_add_f64_e32 v[50:51], v[50:51], v[88:89]
	v_mul_f64_e32 v[88:89], v[18:19], v[48:49]
	s_delay_alu instid0(VALU_DEP_1) | instskip(SKIP_2) | instid1(VALU_DEP_1)
	v_add_f64_e32 v[90:91], v[88:89], v[56:57]
	v_fma_f64 v[18:19], v[18:19], v[48:49], -v[88:89]
	v_ldexp_f64 v[48:49], v[64:65], 2
	v_dual_add_f64 v[104:105], v[90:91], v[50:51] :: v_dual_cndmask_b32 v44, 0, v48, vcc_lo
	s_delay_alu instid0(VALU_DEP_2) | instskip(SKIP_1) | instid1(VALU_DEP_3)
	v_cndmask_b32_e32 v45, 0, v49, vcc_lo
	v_add_f64_e64 v[58:59], v[60:61], -v[32:33]
	v_add_f64_e64 v[60:61], v[104:105], -v[90:91]
	s_delay_alu instid0(VALU_DEP_2) | instskip(NEXT) | instid1(VALU_DEP_2)
	v_add_f64_e32 v[32:33], v[58:59], v[104:105]
	v_add_f64_e64 v[50:51], v[50:51], -v[60:61]
	v_add_f64_e64 v[60:61], v[104:105], -v[60:61]
	s_delay_alu instid0(VALU_DEP_3) | instskip(SKIP_1) | instid1(VALU_DEP_3)
	v_add_f64_e32 v[48:49], v[32:33], v[44:45]
	v_add_f64_e64 v[58:59], v[32:33], -v[58:59]
	v_add_f64_e64 v[60:61], v[90:91], -v[60:61]
	s_delay_alu instid0(VALU_DEP_3) | instskip(NEXT) | instid1(VALU_DEP_3)
	v_cmp_gt_f64_e32 vcc_lo, 0, v[48:49]
	v_add_f64_e64 v[58:59], v[104:105], -v[58:59]
	s_delay_alu instid0(VALU_DEP_3) | instskip(SKIP_2) | instid1(VALU_DEP_1)
	v_add_f64_e32 v[50:51], v[50:51], v[60:61]
	v_add_f64_e64 v[60:61], v[90:91], -v[88:89]
	v_cndmask_b32_e64 v41, 0, 0x40100000, vcc_lo
	v_add_f64_e32 v[44:45], v[44:45], v[40:41]
	s_delay_alu instid0(VALU_DEP_3) | instskip(SKIP_1) | instid1(VALU_DEP_3)
	v_add_f64_e64 v[56:57], v[56:57], -v[60:61]
	v_add_f64_e64 v[60:61], v[90:91], -v[60:61]
	v_add_f64_e32 v[48:49], v[32:33], v[44:45]
	s_delay_alu instid0(VALU_DEP_2) | instskip(NEXT) | instid1(VALU_DEP_2)
	v_add_f64_e64 v[60:61], v[88:89], -v[60:61]
	v_cvt_i32_f64_e32 v0, v[48:49]
	s_delay_alu instid0(VALU_DEP_2) | instskip(NEXT) | instid1(VALU_DEP_2)
	v_add_f64_e32 v[56:57], v[56:57], v[60:61]
	v_cvt_f64_i32_e32 v[48:49], v0
	s_delay_alu instid0(VALU_DEP_2) | instskip(NEXT) | instid1(VALU_DEP_2)
	v_add_f64_e32 v[50:51], v[56:57], v[50:51]
	v_add_f64_e64 v[44:45], v[44:45], -v[48:49]
	s_delay_alu instid0(VALU_DEP_2) | instskip(NEXT) | instid1(VALU_DEP_2)
	v_add_f64_e32 v[18:19], v[18:19], v[50:51]
	v_add_f64_e32 v[48:49], v[32:33], v[44:45]
	s_delay_alu instid0(VALU_DEP_2) | instskip(NEXT) | instid1(VALU_DEP_2)
	v_add_f64_e32 v[18:19], v[58:59], v[18:19]
                                        ; implicit-def: $vgpr58_vgpr59
	v_add_f64_e64 v[44:45], v[48:49], -v[44:45]
	v_cmp_le_f64_e32 vcc_lo, 0.5, v[48:49]
	s_delay_alu instid0(VALU_DEP_2) | instskip(SKIP_2) | instid1(VALU_DEP_3)
	v_add_f64_e64 v[32:33], v[32:33], -v[44:45]
	v_cndmask_b32_e64 v41, 0, 0x3ff00000, vcc_lo
	v_add_co_ci_u32_e64 v60, null, 0, v0, vcc_lo
	v_add_f64_e32 v[18:19], v[18:19], v[32:33]
	s_delay_alu instid0(VALU_DEP_3) | instskip(NEXT) | instid1(VALU_DEP_1)
	v_add_f64_e64 v[32:33], v[48:49], -v[40:41]
	v_add_f64_e32 v[44:45], v[32:33], v[18:19]
	s_delay_alu instid0(VALU_DEP_1) | instskip(NEXT) | instid1(VALU_DEP_1)
	v_add_f64_e64 v[32:33], v[44:45], -v[32:33]
	v_add_f64_e64 v[18:19], v[18:19], -v[32:33]
	v_mul_f64_e32 v[32:33], 0x3ff921fb54442d18, v[44:45]
	s_delay_alu instid0(VALU_DEP_1) | instskip(NEXT) | instid1(VALU_DEP_1)
	v_fma_f64 v[48:49], v[44:45], s[20:21], -v[32:33]
	v_fmac_f64_e32 v[48:49], 0x3c91a62633145c07, v[44:45]
	s_delay_alu instid0(VALU_DEP_1) | instskip(NEXT) | instid1(VALU_DEP_1)
	v_fmac_f64_e32 v[48:49], 0x3ff921fb54442d18, v[18:19]
	v_add_f64_e32 v[44:45], v[32:33], v[48:49]
	s_delay_alu instid0(VALU_DEP_1) | instskip(NEXT) | instid1(VALU_DEP_1)
	v_add_f64_e64 v[18:19], v[44:45], -v[32:33]
	v_add_f64_e64 v[48:49], v[48:49], -v[18:19]
	s_and_not1_saveexec_b32 s2, s2
	s_cbranch_execnz .LBB1_116
	s_branch .LBB1_117
.LBB1_115:                              ;   in Loop: Header=BB1_93 Depth=3
	s_and_not1_saveexec_b32 s2, s2
	s_cbranch_execz .LBB1_117
.LBB1_116:                              ;   in Loop: Header=BB1_93 Depth=3
	s_delay_alu instid0(VALU_DEP_1) | instskip(SKIP_2) | instid1(VALU_DEP_2)
	v_fma_f64 v[18:19], v[58:59], s[24:25], |v[98:99]|
	v_mul_f64_e32 v[32:33], 0xbc91a62633145c00, v[58:59]
	v_cvt_i32_f64_e32 v60, v[58:59]
	v_add_f64_e32 v[44:45], v[18:19], v[32:33]
	s_delay_alu instid0(VALU_DEP_1) | instskip(SKIP_1) | instid1(VALU_DEP_1)
	v_add_f64_e64 v[48:49], v[18:19], -v[44:45]
	v_fmamk_f64 v[18:19], v[58:59], 0xbc91a62633145c00, v[18:19]
	v_add_f64_e64 v[44:45], v[44:45], -v[18:19]
	s_delay_alu instid0(VALU_DEP_3) | instskip(SKIP_1) | instid1(VALU_DEP_2)
	v_add_f64_e32 v[48:49], v[48:49], v[32:33]
	v_fmamk_f64 v[32:33], v[58:59], 0x3c91a62633145c00, v[32:33]
	v_add_f64_e32 v[44:45], v[44:45], v[48:49]
	s_delay_alu instid0(VALU_DEP_1) | instskip(NEXT) | instid1(VALU_DEP_1)
	v_add_f64_e64 v[32:33], v[44:45], -v[32:33]
	v_fmac_f64_e32 v[32:33], 0xb97b839a252049c0, v[58:59]
	s_delay_alu instid0(VALU_DEP_1) | instskip(NEXT) | instid1(VALU_DEP_1)
	v_add_f64_e32 v[44:45], v[18:19], v[32:33]
	v_add_f64_e64 v[18:19], v[44:45], -v[18:19]
	s_delay_alu instid0(VALU_DEP_1)
	v_add_f64_e64 v[48:49], v[32:33], -v[18:19]
.LBB1_117:                              ;   in Loop: Header=BB1_93 Depth=3
	s_or_b32 exec_lo, exec_lo, s2
	scratch_load_b64 v[2:3], off, off offset:8 ; 8-byte Folded Reload
	v_mul_f64_e32 v[14:15], v[14:15], v[42:43]
	v_dual_add_f64 v[32:33], v[20:21], v[20:21] :: v_dual_bitop2_b32 v0, 1, v10 bitop3:0x40
	v_add_f64_e32 v[34:35], v[8:9], v[34:35]
	v_mov_b64_e32 v[12:13], 0xbe5ae600b42fdfa7
	v_mov_b64_e32 v[4:5], 0x3e21eeb69037ab78
	v_fmamk_f64 v[124:125], v[82:83], 0x3fb3333333333333, v[126:127]
	v_fmamk_f64 v[114:115], v[80:81], 0x3fd3333333333333, v[74:75]
	s_delay_alu instid0(VALU_DEP_1) | instskip(SKIP_1) | instid1(VALU_DEP_1)
	v_fmac_f64_e32 v[114:115], 0xbfeccccccccccccd, v[92:93]
	v_div_scale_f64 v[42:43], null, v[14:15], v[14:15], 1.0
	v_rcp_f64_e32 v[50:51], v[42:43]
	v_nop
	s_delay_alu instid0(TRANS32_DEP_1) | instskip(NEXT) | instid1(VALU_DEP_1)
	v_fma_f64 v[56:57], -v[42:43], v[50:51], 1.0
	v_fmac_f64_e32 v[50:51], v[50:51], v[56:57]
	s_delay_alu instid0(VALU_DEP_1) | instskip(NEXT) | instid1(VALU_DEP_1)
	v_fma_f64 v[56:57], -v[42:43], v[50:51], 1.0
	v_fmac_f64_e32 v[50:51], v[50:51], v[56:57]
	v_div_scale_f64 v[56:57], vcc_lo, 1.0, v[14:15], 1.0
	s_delay_alu instid0(VALU_DEP_1) | instskip(NEXT) | instid1(VALU_DEP_1)
	v_mul_f64_e32 v[58:59], v[56:57], v[50:51]
	v_fma_f64 v[42:43], -v[42:43], v[58:59], v[56:57]
	s_delay_alu instid0(VALU_DEP_1)
	v_div_fmas_f64 v[42:43], v[42:43], v[50:51], v[58:59]
	v_cmp_eq_u32_e32 vcc_lo, 0, v0
	v_add_f64_e32 v[20:21], -1.0, v[20:21]
	s_wait_loadcnt 0x0
	v_fmamk_f64 v[106:107], v[52:53], 0xbfca12f684bda12f, v[2:3]
	scratch_load_b64 v[2:3], off, off       ; 8-byte Folded Reload
	v_fmac_f64_e32 v[106:107], 0x40040000, v[96:97]
	v_div_fixup_f64 v[14:15], v[42:43], v[14:15], 1.0
	s_delay_alu instid0(VALU_DEP_2)
	v_fmac_f64_e32 v[106:107], 0xc004bda12f684bda, v[84:85]
	s_wait_loadcnt 0x0
	v_fmamk_f64 v[18:19], v[78:79], 0x3fd3333333333333, v[2:3]
	scratch_load_b64 v[2:3], off, off offset:16 ; 8-byte Folded Reload
	v_fmac_f64_e32 v[18:19], 0xbfeccccccccccccd, v[94:95]
	s_wait_loadcnt 0x0
	v_mul_f64_e32 v[42:43], v[2:3], v[20:21]
	scratch_load_b64 v[2:3], off, off offset:24 ; 8-byte Folded Reload
	v_fma_f64 v[32:33], v[32:33], v[34:35], -v[42:43]
	v_add_f64_e32 v[34:35], v[6:7], v[6:7]
	s_delay_alu instid0(VALU_DEP_1) | instskip(NEXT) | instid1(VALU_DEP_1)
	v_mul_f64_e32 v[6:7], v[6:7], v[34:35]
	v_mul_f64_e32 v[6:7], v[20:21], v[6:7]
	s_delay_alu instid0(VALU_DEP_1) | instskip(SKIP_3) | instid1(VALU_DEP_1)
	v_mul_f64_e32 v[6:7], v[6:7], v[38:39]
	s_wait_loadcnt 0x0
	v_add_f64_e64 v[32:33], v[32:33], -v[2:3]
	v_lshlrev_b32_e32 v3, 30, v10
                                        ; implicit-def: $vgpr10
	v_xor_b32_e32 v1, v3, v1
	s_delay_alu instid0(VALU_DEP_3) | instskip(SKIP_2) | instid1(VALU_DEP_3)
	v_dual_fma_f64 v[6:7], v[32:33], v[14:15], -v[6:7] :: v_dual_bitop2_b32 v3, 1, v60 bitop3:0x40
	v_mul_f64_e32 v[14:15], v[46:47], v[46:47]
	v_mul_f64_e32 v[32:33], 0.5, v[86:87]
	v_mul_f64_e64 v[104:105], v[54:55], -v[6:7]
	s_delay_alu instid0(VALU_DEP_3) | instskip(SKIP_3) | instid1(VALU_DEP_3)
	v_mul_f64_e64 v[6:7], v[46:47], -v[14:15]
	v_fmamk_f64 v[20:21], v[14:15], 0x3de5e0b2f9a43bb8, v[12:13]
	v_fmamk_f64 v[38:39], v[14:15], 0xbda907db46cc5e42, v[4:5]
	v_mul_f64_e32 v[34:35], v[14:15], v[14:15]
	v_fmaak_f64 v[20:21], v[14:15], v[20:21], 0x3ec71de3796cde01
	s_delay_alu instid0(VALU_DEP_3) | instskip(NEXT) | instid1(VALU_DEP_2)
	v_fmaak_f64 v[38:39], v[14:15], v[38:39], 0xbe927e4fa17f65f6
	v_fmaak_f64 v[20:21], v[14:15], v[20:21], 0xbf2a01a019e83e5c
	s_delay_alu instid0(VALU_DEP_2) | instskip(NEXT) | instid1(VALU_DEP_2)
	v_fmaak_f64 v[38:39], v[14:15], v[38:39], 0x3efa01a019f4ec90
	v_fmaak_f64 v[20:21], v[14:15], v[20:21], 0x3f81111111110bb3
	s_delay_alu instid0(VALU_DEP_2) | instskip(SKIP_1) | instid1(VALU_DEP_3)
	v_fmaak_f64 v[38:39], v[14:15], v[38:39], 0xbf56c16c16c16967
	v_fmac_f64_e32 v[124:125], 0x3fcccccccccccccd, v[104:105]
	v_fmac_f64_e32 v[32:33], v[6:7], v[20:21]
	s_delay_alu instid0(VALU_DEP_1) | instskip(NEXT) | instid1(VALU_DEP_1)
	v_fma_f64 v[20:21], v[14:15], v[32:33], -v[86:87]
	v_fmac_f64_e32 v[20:21], 0xbfc5555555555555, v[6:7]
	s_delay_alu instid0(VALU_DEP_1) | instskip(SKIP_2) | instid1(VALU_DEP_2)
	v_add_f64_e64 v[6:7], v[46:47], -v[20:21]
	v_mul_f64_e32 v[20:21], 0.5, v[14:15]
	v_fmaak_f64 v[14:15], v[14:15], v[38:39], 0x3fa5555555555555
	v_add_f64_e64 v[32:33], -v[20:21], 1.0
	s_delay_alu instid0(VALU_DEP_1) | instskip(NEXT) | instid1(VALU_DEP_1)
	v_add_f64_e64 v[38:39], -v[32:33], 1.0
	v_add_f64_e64 v[20:21], v[38:39], -v[20:21]
	s_delay_alu instid0(VALU_DEP_1) | instskip(NEXT) | instid1(VALU_DEP_1)
	v_fma_f64 v[20:21], v[46:47], -v[86:87], v[20:21]
	v_fmac_f64_e32 v[20:21], v[34:35], v[14:15]
	s_delay_alu instid0(VALU_DEP_1) | instskip(NEXT) | instid1(VALU_DEP_1)
	v_add_f64_e32 v[14:15], v[32:33], v[20:21]
	v_cndmask_b32_e32 v0, v14, v6, vcc_lo
	s_delay_alu instid0(VALU_DEP_1) | instskip(NEXT) | instid1(VALU_DEP_1)
	v_dual_cndmask_b32 v0, 0, v0, s0 :: v_dual_cndmask_b32 v2, v15, v7, vcc_lo
	v_bitop3_b32 v1, v2, v1, 0x80000000 bitop3:0x78
	s_delay_alu instid0(VALU_DEP_1) | instskip(SKIP_1) | instid1(VALU_DEP_2)
	v_cndmask_b32_e64 v1, 0x7ff80000, v1, s0
	v_cmp_class_f64_e64 s0, v[98:99], 0x1f8
	v_mul_f64_e32 v[6:7], v[0:1], v[0:1]
	v_cmp_gt_f64_e32 vcc_lo, s[26:27], v[0:1]
	s_delay_alu instid0(VALU_DEP_2) | instskip(NEXT) | instid1(VALU_DEP_3)
	v_cndmask_b32_e64 v113, v7, 0x3c9cd2b2, vcc_lo
	v_cndmask_b32_e64 v112, v6, 0x97d889bc, vcc_lo
	;; [unrolled: 1-line block ×4, first 2 shown]
	v_fma_f64 v[6:7], -2.0, v[100:101], v[108:109]
	s_delay_alu instid0(VALU_DEP_2) | instskip(SKIP_1) | instid1(VALU_DEP_3)
	v_mul_f64_e64 v[0:1], -v[0:1], v[16:17]
	v_mul_f64_e32 v[16:17], v[112:113], v[112:113]
	v_add_f64_e32 v[6:7], v[8:9], v[6:7]
	s_delay_alu instid0(VALU_DEP_2) | instskip(NEXT) | instid1(VALU_DEP_2)
	v_div_scale_f64 v[20:21], null, v[16:17], v[16:17], v[28:29]
	v_mul_f64_e64 v[14:15], v[6:7], -v[124:125]
	s_delay_alu instid0(VALU_DEP_2) | instskip(NEXT) | instid1(VALU_DEP_1)
	v_rcp_f64_e32 v[32:33], v[20:21]
	v_mul_f64_e32 v[14:15], v[14:15], v[36:37]
	s_delay_alu instid0(TRANS32_DEP_1) | instskip(NEXT) | instid1(VALU_DEP_2)
	v_fma_f64 v[34:35], -v[20:21], v[32:33], 1.0
	v_mul_f64_e32 v[88:89], v[54:55], v[14:15]
	v_mul_f64_e32 v[14:15], v[44:45], v[44:45]
	s_delay_alu instid0(VALU_DEP_3) | instskip(NEXT) | instid1(VALU_DEP_3)
	v_fmac_f64_e32 v[32:33], v[32:33], v[34:35]
	v_fmac_f64_e32 v[114:115], 0x3ff3333333333333, v[88:89]
	s_delay_alu instid0(VALU_DEP_2) | instskip(NEXT) | instid1(VALU_DEP_2)
	v_fma_f64 v[34:35], -v[20:21], v[32:33], 1.0
	v_mul_f64_e32 v[116:117], v[114:115], v[114:115]
	s_delay_alu instid0(VALU_DEP_2) | instskip(SKIP_1) | instid1(VALU_DEP_1)
	v_fmac_f64_e32 v[32:33], v[32:33], v[34:35]
	v_div_scale_f64 v[34:35], vcc_lo, v[28:29], v[16:17], v[28:29]
	v_mul_f64_e32 v[38:39], v[34:35], v[32:33]
	s_delay_alu instid0(VALU_DEP_1) | instskip(NEXT) | instid1(VALU_DEP_1)
	v_fma_f64 v[20:21], -v[20:21], v[38:39], v[34:35]
                                        ; implicit-def: $vgpr34_vgpr35
	v_div_fmas_f64 v[20:21], v[20:21], v[32:33], v[38:39]
	v_fmamk_f64 v[32:33], v[14:15], 0xbda907db46cc5e42, v[4:5]
	v_cmp_eq_u32_e32 vcc_lo, 0, v3
                                        ; implicit-def: $vgpr38_vgpr39
	s_delay_alu instid0(VALU_DEP_2) | instskip(NEXT) | instid1(VALU_DEP_1)
	v_fmaak_f64 v[32:33], v[14:15], v[32:33], 0xbe927e4fa17f65f6
	v_fmaak_f64 v[32:33], v[14:15], v[32:33], 0x3efa01a019f4ec90
	s_delay_alu instid0(VALU_DEP_1) | instskip(NEXT) | instid1(VALU_DEP_1)
	v_fmaak_f64 v[32:33], v[14:15], v[32:33], 0xbf56c16c16c16967
	v_fmaak_f64 v[32:33], v[14:15], v[32:33], 0x3fa5555555555555
	v_div_fixup_f64 v[16:17], v[20:21], v[16:17], v[28:29]
	s_delay_alu instid0(VALU_DEP_1) | instskip(NEXT) | instid1(VALU_DEP_1)
	v_add_f64_e64 v[16:17], v[16:17], -v[8:9]
	v_mul_f64_e32 v[0:1], v[16:17], v[0:1]
	s_delay_alu instid0(VALU_DEP_1) | instskip(NEXT) | instid1(VALU_DEP_1)
	v_mul_f64_e32 v[0:1], v[0:1], v[36:37]
	v_mul_f64_e32 v[86:87], v[54:55], v[0:1]
	v_mul_f64_e32 v[0:1], 0.5, v[14:15]
	s_delay_alu instid0(VALU_DEP_2) | instskip(NEXT) | instid1(VALU_DEP_2)
	v_fmac_f64_e32 v[18:19], 0x3ff3333333333333, v[86:87]
	v_add_f64_e64 v[16:17], -v[0:1], 1.0
	s_delay_alu instid0(VALU_DEP_1) | instskip(NEXT) | instid1(VALU_DEP_1)
	v_add_f64_e64 v[20:21], -v[16:17], 1.0
	v_add_f64_e64 v[0:1], v[20:21], -v[0:1]
	v_mul_f64_e32 v[20:21], v[14:15], v[14:15]
	s_delay_alu instid0(VALU_DEP_2) | instskip(NEXT) | instid1(VALU_DEP_1)
	v_fma_f64 v[0:1], v[44:45], -v[48:49], v[0:1]
	v_fmac_f64_e32 v[0:1], v[20:21], v[32:33]
	v_mul_f64_e32 v[32:33], 0.5, v[48:49]
	s_delay_alu instid0(VALU_DEP_2) | instskip(SKIP_1) | instid1(VALU_DEP_1)
	v_add_f64_e32 v[0:1], v[16:17], v[0:1]
	v_fmamk_f64 v[16:17], v[14:15], 0x3de5e0b2f9a43bb8, v[12:13]
	v_fmaak_f64 v[16:17], v[14:15], v[16:17], 0x3ec71de3796cde01
	s_delay_alu instid0(VALU_DEP_1) | instskip(NEXT) | instid1(VALU_DEP_1)
	v_fmaak_f64 v[16:17], v[14:15], v[16:17], 0xbf2a01a019e83e5c
	v_fmaak_f64 v[20:21], v[14:15], v[16:17], 0x3f81111111110bb3
	v_mul_f64_e64 v[16:17], v[44:45], -v[14:15]
	s_delay_alu instid0(VALU_DEP_1) | instskip(NEXT) | instid1(VALU_DEP_1)
	v_fmac_f64_e32 v[32:33], v[16:17], v[20:21]
	v_fma_f64 v[14:15], v[14:15], v[32:33], -v[48:49]
	s_delay_alu instid0(VALU_DEP_1) | instskip(NEXT) | instid1(VALU_DEP_1)
	v_fmac_f64_e32 v[14:15], 0xbfc5555555555555, v[16:17]
	v_add_f64_e64 v[14:15], v[44:45], -v[14:15]
	s_delay_alu instid0(VALU_DEP_1) | instskip(NEXT) | instid1(VALU_DEP_2)
	v_xor_b32_e32 v2, 0x80000000, v15
	v_cndmask_b32_e32 v0, v14, v0, vcc_lo
	s_delay_alu instid0(VALU_DEP_2) | instskip(NEXT) | instid1(VALU_DEP_2)
	v_dual_cndmask_b32 v1, v2, v1 :: v_dual_lshlrev_b32 v2, 30, v60
	v_cndmask_b32_e64 v14, 0, v0, s0
	s_delay_alu instid0(VALU_DEP_2) | instskip(NEXT) | instid1(VALU_DEP_1)
	v_bitop3_b32 v1, v1, v2, 0x80000000 bitop3:0x78
	v_cndmask_b32_e64 v15, 0x7ff80000, v1, s0
	s_delay_alu instid0(VALU_DEP_1) | instskip(NEXT) | instid1(VALU_DEP_1)
	v_mul_f64_e32 v[0:1], v[14:15], v[14:15]
	v_fma_f64 v[118:119], v[8:9], v[0:1], v[116:117]
	s_delay_alu instid0(VALU_DEP_1) | instskip(NEXT) | instid1(VALU_DEP_1)
	v_div_scale_f64 v[0:1], null, v[118:119], v[118:119], 1.0
	v_rcp_f64_e32 v[16:17], v[0:1]
	v_nop
	s_delay_alu instid0(TRANS32_DEP_1) | instskip(NEXT) | instid1(VALU_DEP_1)
	v_fma_f64 v[20:21], -v[0:1], v[16:17], 1.0
	v_fmac_f64_e32 v[16:17], v[16:17], v[20:21]
	s_delay_alu instid0(VALU_DEP_1) | instskip(NEXT) | instid1(VALU_DEP_1)
	v_fma_f64 v[20:21], -v[0:1], v[16:17], 1.0
	v_fmac_f64_e32 v[16:17], v[16:17], v[20:21]
	v_div_scale_f64 v[20:21], vcc_lo, 1.0, v[118:119], 1.0
	s_delay_alu instid0(VALU_DEP_1) | instskip(NEXT) | instid1(VALU_DEP_1)
	v_mul_f64_e32 v[32:33], v[20:21], v[16:17]
	v_fma_f64 v[0:1], -v[0:1], v[32:33], v[20:21]
	s_delay_alu instid0(VALU_DEP_1) | instskip(NEXT) | instid1(VALU_DEP_1)
	v_div_fmas_f64 v[0:1], v[0:1], v[16:17], v[32:33]
	v_div_fixup_f64 v[20:21], v[0:1], v[118:119], 1.0
	s_delay_alu instid0(VALU_DEP_1) | instskip(NEXT) | instid1(VALU_DEP_1)
	v_mul_f64_e64 v[0:1], v[20:21], -v[18:19]
	v_mul_f64_e32 v[90:91], v[54:55], v[0:1]
	s_delay_alu instid0(VALU_DEP_1) | instskip(NEXT) | instid1(VALU_DEP_1)
	v_fmac_f64_e32 v[106:107], 0x3ff4bda12f684bda, v[90:91]
	v_cmp_ngt_f64_e64 s2, 0x41d00000, |v[106:107]|
	v_trig_preop_f64 v[18:19], |v[106:107]|, 0
	v_trig_preop_f64 v[16:17], |v[106:107]|, 1
	v_ldexp_f64 v[32:33], |v[106:107]|, 0xffffff80
	v_trig_preop_f64 v[0:1], |v[106:107]|, 2
	v_and_b32_e32 v44, 0x7fffffff, v107
	s_wait_xcnt 0x0
	s_and_saveexec_b32 s33, s2
	s_delay_alu instid0(SALU_CYCLE_1)
	s_xor_b32 s33, exec_lo, s33
	s_cbranch_execz .LBB1_119
; %bb.118:                              ;   in Loop: Header=BB1_93 Depth=3
	v_cmp_le_f64_e64 vcc_lo, 0x7b000000, |v[106:107]|
	s_delay_alu instid0(VALU_DEP_4) | instskip(NEXT) | instid1(VALU_DEP_1)
	v_dual_cndmask_b32 v43, v44, v33 :: v_dual_cndmask_b32 v42, v106, v32
	v_mul_f64_e32 v[46:47], v[18:19], v[42:43]
	v_mul_f64_e32 v[34:35], v[16:17], v[42:43]
	;; [unrolled: 1-line block ×3, first 2 shown]
	s_delay_alu instid0(VALU_DEP_3) | instskip(NEXT) | instid1(VALU_DEP_1)
	v_fma_f64 v[48:49], v[18:19], v[42:43], -v[46:47]
	v_add_f64_e32 v[50:51], v[34:35], v[48:49]
	s_delay_alu instid0(VALU_DEP_1) | instskip(SKIP_1) | instid1(VALU_DEP_2)
	v_add_f64_e32 v[56:57], v[46:47], v[50:51]
	v_add_f64_e64 v[60:61], v[50:51], -v[34:35]
	v_ldexp_f64 v[38:39], v[56:57], -2
	s_delay_alu instid0(VALU_DEP_1) | instskip(NEXT) | instid1(VALU_DEP_3)
	v_cmp_neq_f64_e64 vcc_lo, 0x7ff00000, |v[38:39]|
	v_add_f64_e64 v[48:49], v[48:49], -v[60:61]
	v_add_f64_e64 v[60:61], v[50:51], -v[60:61]
	v_fract_f64_e32 v[58:59], v[38:39]
	s_delay_alu instid0(VALU_DEP_2) | instskip(NEXT) | instid1(VALU_DEP_1)
	v_add_f64_e64 v[60:61], v[34:35], -v[60:61]
	v_add_f64_e32 v[48:49], v[48:49], v[60:61]
	v_fma_f64 v[60:61], v[16:17], v[42:43], -v[34:35]
	v_add_f64_e64 v[34:35], v[56:57], -v[46:47]
	v_fma_f64 v[42:43], v[0:1], v[42:43], -v[62:63]
	s_delay_alu instid0(VALU_DEP_3) | instskip(NEXT) | instid1(VALU_DEP_3)
	v_add_f64_e32 v[64:65], v[62:63], v[60:61]
	v_add_f64_e64 v[46:47], v[50:51], -v[34:35]
	s_delay_alu instid0(VALU_DEP_2) | instskip(NEXT) | instid1(VALU_DEP_1)
	v_add_f64_e32 v[122:123], v[64:65], v[48:49]
	v_add_f64_e64 v[50:51], v[122:123], -v[64:65]
	s_delay_alu instid0(VALU_DEP_3) | instskip(NEXT) | instid1(VALU_DEP_2)
	v_add_f64_e32 v[34:35], v[46:47], v[122:123]
	v_add_f64_e64 v[48:49], v[48:49], -v[50:51]
	v_add_f64_e64 v[50:51], v[122:123], -v[50:51]
	s_delay_alu instid0(VALU_DEP_3) | instskip(NEXT) | instid1(VALU_DEP_2)
	v_add_f64_e64 v[46:47], v[34:35], -v[46:47]
	v_add_f64_e64 v[50:51], v[64:65], -v[50:51]
	s_delay_alu instid0(VALU_DEP_2) | instskip(NEXT) | instid1(VALU_DEP_2)
	v_add_f64_e64 v[46:47], v[122:123], -v[46:47]
	v_add_f64_e32 v[48:49], v[48:49], v[50:51]
	v_add_f64_e64 v[50:51], v[64:65], -v[62:63]
	s_delay_alu instid0(VALU_DEP_1) | instskip(SKIP_1) | instid1(VALU_DEP_1)
	v_add_f64_e64 v[56:57], v[60:61], -v[50:51]
	v_add_f64_e64 v[50:51], v[64:65], -v[50:51]
	;; [unrolled: 1-line block ×3, first 2 shown]
	s_delay_alu instid0(VALU_DEP_1) | instskip(NEXT) | instid1(VALU_DEP_1)
	v_add_f64_e32 v[50:51], v[56:57], v[50:51]
	v_add_f64_e32 v[48:49], v[50:51], v[48:49]
	s_delay_alu instid0(VALU_DEP_1) | instskip(NEXT) | instid1(VALU_DEP_1)
	v_add_f64_e32 v[42:43], v[42:43], v[48:49]
	v_add_f64_e32 v[42:43], v[46:47], v[42:43]
	v_ldexp_f64 v[46:47], v[58:59], 2
	s_delay_alu instid0(VALU_DEP_1) | instskip(NEXT) | instid1(VALU_DEP_1)
	v_dual_cndmask_b32 v39, 0, v47 :: v_dual_cndmask_b32 v38, 0, v46
	v_add_f64_e32 v[46:47], v[34:35], v[38:39]
	s_delay_alu instid0(VALU_DEP_1) | instskip(SKIP_1) | instid1(VALU_DEP_1)
	v_cmp_gt_f64_e32 vcc_lo, 0, v[46:47]
	v_cndmask_b32_e64 v41, 0, 0x40100000, vcc_lo
	v_add_f64_e32 v[38:39], v[38:39], v[40:41]
	s_delay_alu instid0(VALU_DEP_1) | instskip(NEXT) | instid1(VALU_DEP_1)
	v_add_f64_e32 v[46:47], v[34:35], v[38:39]
	v_cvt_i32_f64_e32 v2, v[46:47]
	s_delay_alu instid0(VALU_DEP_1) | instskip(NEXT) | instid1(VALU_DEP_1)
	v_cvt_f64_i32_e32 v[46:47], v2
	v_add_f64_e64 v[38:39], v[38:39], -v[46:47]
	s_delay_alu instid0(VALU_DEP_1) | instskip(NEXT) | instid1(VALU_DEP_1)
	v_add_f64_e32 v[46:47], v[34:35], v[38:39]
	v_add_f64_e64 v[38:39], v[46:47], -v[38:39]
	v_cmp_le_f64_e32 vcc_lo, 0.5, v[46:47]
	s_delay_alu instid0(VALU_DEP_2) | instskip(SKIP_2) | instid1(VALU_DEP_2)
	v_add_f64_e64 v[34:35], v[34:35], -v[38:39]
	v_cndmask_b32_e64 v41, 0, 0x3ff00000, vcc_lo
	v_add_co_ci_u32_e64 v10, null, 0, v2, vcc_lo
	v_add_f64_e64 v[38:39], v[46:47], -v[40:41]
	s_delay_alu instid0(VALU_DEP_4) | instskip(NEXT) | instid1(VALU_DEP_1)
	v_add_f64_e32 v[34:35], v[42:43], v[34:35]
	v_add_f64_e32 v[42:43], v[38:39], v[34:35]
	s_delay_alu instid0(VALU_DEP_1) | instskip(SKIP_1) | instid1(VALU_DEP_2)
	v_mul_f64_e32 v[46:47], 0x3ff921fb54442d18, v[42:43]
	v_add_f64_e64 v[38:39], v[42:43], -v[38:39]
	v_fma_f64 v[48:49], v[42:43], s[20:21], -v[46:47]
	s_delay_alu instid0(VALU_DEP_2) | instskip(NEXT) | instid1(VALU_DEP_2)
	v_add_f64_e64 v[34:35], v[34:35], -v[38:39]
	v_fmac_f64_e32 v[48:49], 0x3c91a62633145c07, v[42:43]
	s_delay_alu instid0(VALU_DEP_1) | instskip(NEXT) | instid1(VALU_DEP_1)
	v_fmac_f64_e32 v[48:49], 0x3ff921fb54442d18, v[34:35]
	v_add_f64_e32 v[38:39], v[46:47], v[48:49]
	s_delay_alu instid0(VALU_DEP_1) | instskip(NEXT) | instid1(VALU_DEP_1)
	v_add_f64_e64 v[34:35], v[38:39], -v[46:47]
	v_add_f64_e64 v[34:35], v[48:49], -v[34:35]
.LBB1_119:                              ;   in Loop: Header=BB1_93 Depth=3
	s_or_saveexec_b32 s33, s33
	v_mul_f64_e64 v[42:43], |v[106:107]|, s[22:23]
	s_delay_alu instid0(VALU_DEP_1)
	v_rndne_f64_e32 v[42:43], v[42:43]
	s_xor_b32 exec_lo, exec_lo, s33
	s_cbranch_execz .LBB1_121
; %bb.120:                              ;   in Loop: Header=BB1_93 Depth=3
	s_delay_alu instid0(VALU_DEP_1) | instskip(SKIP_2) | instid1(VALU_DEP_2)
	v_fma_f64 v[34:35], v[42:43], s[24:25], |v[106:107]|
	v_mul_f64_e32 v[38:39], 0xbc91a62633145c00, v[42:43]
	v_cvt_i32_f64_e32 v10, v[42:43]
	v_add_f64_e32 v[46:47], v[34:35], v[38:39]
	s_delay_alu instid0(VALU_DEP_1) | instskip(SKIP_1) | instid1(VALU_DEP_1)
	v_add_f64_e64 v[48:49], v[34:35], -v[46:47]
	v_fmamk_f64 v[34:35], v[42:43], 0xbc91a62633145c00, v[34:35]
	v_add_f64_e64 v[46:47], v[46:47], -v[34:35]
	s_delay_alu instid0(VALU_DEP_3) | instskip(SKIP_1) | instid1(VALU_DEP_2)
	v_add_f64_e32 v[48:49], v[48:49], v[38:39]
	v_fmamk_f64 v[38:39], v[42:43], 0x3c91a62633145c00, v[38:39]
	v_add_f64_e32 v[46:47], v[46:47], v[48:49]
	s_delay_alu instid0(VALU_DEP_1) | instskip(NEXT) | instid1(VALU_DEP_1)
	v_add_f64_e64 v[46:47], v[46:47], -v[38:39]
	v_fmac_f64_e32 v[46:47], 0xb97b839a252049c0, v[42:43]
	s_delay_alu instid0(VALU_DEP_1) | instskip(NEXT) | instid1(VALU_DEP_1)
	v_add_f64_e32 v[38:39], v[34:35], v[46:47]
	v_add_f64_e64 v[34:35], v[38:39], -v[34:35]
	s_delay_alu instid0(VALU_DEP_1)
	v_add_f64_e64 v[34:35], v[46:47], -v[34:35]
.LBB1_121:                              ;   in Loop: Header=BB1_93 Depth=3
	s_or_b32 exec_lo, exec_lo, s33
                                        ; implicit-def: $vgpr58
                                        ; implicit-def: $vgpr48_vgpr49
                                        ; implicit-def: $vgpr50_vgpr51
	s_and_saveexec_b32 s33, s2
	s_delay_alu instid0(SALU_CYCLE_1)
	s_xor_b32 s2, exec_lo, s33
	s_cbranch_execz .LBB1_123
; %bb.122:                              ;   in Loop: Header=BB1_93 Depth=3
	v_cmp_le_f64_e64 vcc_lo, 0x7b000000, |v[106:107]|
	v_dual_cndmask_b32 v33, v44, v33 :: v_dual_cndmask_b32 v32, v106, v32
	s_delay_alu instid0(VALU_DEP_1) | instskip(SKIP_1) | instid1(VALU_DEP_2)
	v_mul_f64_e32 v[44:45], v[18:19], v[32:33]
	v_mul_f64_e32 v[42:43], v[16:17], v[32:33]
	v_fma_f64 v[46:47], v[18:19], v[32:33], -v[44:45]
	s_delay_alu instid0(VALU_DEP_1) | instskip(NEXT) | instid1(VALU_DEP_1)
	v_add_f64_e32 v[48:49], v[42:43], v[46:47]
	v_add_f64_e32 v[50:51], v[44:45], v[48:49]
	s_delay_alu instid0(VALU_DEP_1) | instskip(NEXT) | instid1(VALU_DEP_1)
	v_ldexp_f64 v[18:19], v[50:51], -2
	v_cmp_neq_f64_e64 vcc_lo, 0x7ff00000, |v[18:19]|
	v_add_f64_e64 v[58:59], v[48:49], -v[42:43]
	v_fract_f64_e32 v[56:57], v[18:19]
	s_delay_alu instid0(VALU_DEP_2) | instskip(SKIP_1) | instid1(VALU_DEP_1)
	v_add_f64_e64 v[46:47], v[46:47], -v[58:59]
	v_add_f64_e64 v[58:59], v[48:49], -v[58:59]
	;; [unrolled: 1-line block ×3, first 2 shown]
	v_fma_f64 v[42:43], v[16:17], v[32:33], -v[42:43]
	v_add_f64_e64 v[16:17], v[50:51], -v[44:45]
	s_delay_alu instid0(VALU_DEP_3) | instskip(SKIP_1) | instid1(VALU_DEP_1)
	v_add_f64_e32 v[46:47], v[46:47], v[58:59]
	v_mul_f64_e32 v[58:59], v[0:1], v[32:33]
	v_add_f64_e32 v[60:61], v[58:59], v[42:43]
	v_fma_f64 v[0:1], v[0:1], v[32:33], -v[58:59]
	v_ldexp_f64 v[32:33], v[56:57], 2
	s_delay_alu instid0(VALU_DEP_1) | instskip(SKIP_1) | instid1(VALU_DEP_3)
	v_dual_add_f64 v[62:63], v[60:61], v[46:47] :: v_dual_cndmask_b32 v19, 0, v33, vcc_lo
	v_add_f64_e64 v[44:45], v[48:49], -v[16:17]
	v_cndmask_b32_e32 v18, 0, v32, vcc_lo
	s_delay_alu instid0(VALU_DEP_3) | instskip(NEXT) | instid1(VALU_DEP_3)
	v_add_f64_e64 v[48:49], v[62:63], -v[60:61]
	v_add_f64_e32 v[16:17], v[44:45], v[62:63]
	s_delay_alu instid0(VALU_DEP_2) | instskip(SKIP_1) | instid1(VALU_DEP_3)
	v_add_f64_e64 v[46:47], v[46:47], -v[48:49]
	v_add_f64_e64 v[48:49], v[62:63], -v[48:49]
	v_add_f64_e32 v[32:33], v[16:17], v[18:19]
	v_add_f64_e64 v[44:45], v[16:17], -v[44:45]
	s_delay_alu instid0(VALU_DEP_3) | instskip(NEXT) | instid1(VALU_DEP_3)
	v_add_f64_e64 v[48:49], v[60:61], -v[48:49]
	v_cmp_gt_f64_e32 vcc_lo, 0, v[32:33]
	s_delay_alu instid0(VALU_DEP_3) | instskip(NEXT) | instid1(VALU_DEP_3)
	v_add_f64_e64 v[44:45], v[62:63], -v[44:45]
	v_add_f64_e32 v[46:47], v[46:47], v[48:49]
	v_add_f64_e64 v[48:49], v[60:61], -v[58:59]
	v_cndmask_b32_e64 v41, 0, 0x40100000, vcc_lo
	s_delay_alu instid0(VALU_DEP_1) | instskip(NEXT) | instid1(VALU_DEP_3)
	v_add_f64_e32 v[18:19], v[18:19], v[40:41]
	v_add_f64_e64 v[42:43], v[42:43], -v[48:49]
	v_add_f64_e64 v[48:49], v[60:61], -v[48:49]
	s_delay_alu instid0(VALU_DEP_3) | instskip(NEXT) | instid1(VALU_DEP_2)
	v_add_f64_e32 v[32:33], v[16:17], v[18:19]
	v_add_f64_e64 v[48:49], v[58:59], -v[48:49]
	s_delay_alu instid0(VALU_DEP_2) | instskip(NEXT) | instid1(VALU_DEP_2)
	v_cvt_i32_f64_e32 v2, v[32:33]
	v_add_f64_e32 v[42:43], v[42:43], v[48:49]
	s_delay_alu instid0(VALU_DEP_2) | instskip(NEXT) | instid1(VALU_DEP_2)
	v_cvt_f64_i32_e32 v[32:33], v2
	v_add_f64_e32 v[42:43], v[42:43], v[46:47]
	s_delay_alu instid0(VALU_DEP_2) | instskip(NEXT) | instid1(VALU_DEP_2)
	v_add_f64_e64 v[18:19], v[18:19], -v[32:33]
	v_add_f64_e32 v[0:1], v[0:1], v[42:43]
                                        ; implicit-def: $vgpr42_vgpr43
	s_delay_alu instid0(VALU_DEP_2) | instskip(NEXT) | instid1(VALU_DEP_2)
	v_add_f64_e32 v[32:33], v[16:17], v[18:19]
	v_add_f64_e32 v[0:1], v[44:45], v[0:1]
	s_delay_alu instid0(VALU_DEP_2) | instskip(SKIP_1) | instid1(VALU_DEP_2)
	v_add_f64_e64 v[18:19], v[32:33], -v[18:19]
	v_cmp_le_f64_e32 vcc_lo, 0.5, v[32:33]
	v_add_f64_e64 v[16:17], v[16:17], -v[18:19]
	v_cndmask_b32_e64 v41, 0, 0x3ff00000, vcc_lo
	v_add_co_ci_u32_e64 v58, null, 0, v2, vcc_lo
	s_delay_alu instid0(VALU_DEP_3) | instskip(NEXT) | instid1(VALU_DEP_3)
	v_add_f64_e32 v[0:1], v[0:1], v[16:17]
	v_add_f64_e64 v[16:17], v[32:33], -v[40:41]
	s_delay_alu instid0(VALU_DEP_1) | instskip(NEXT) | instid1(VALU_DEP_1)
	v_add_f64_e32 v[18:19], v[16:17], v[0:1]
	v_add_f64_e64 v[16:17], v[18:19], -v[16:17]
	s_delay_alu instid0(VALU_DEP_1) | instskip(SKIP_1) | instid1(VALU_DEP_1)
	v_add_f64_e64 v[0:1], v[0:1], -v[16:17]
	v_mul_f64_e32 v[16:17], 0x3ff921fb54442d18, v[18:19]
	v_fma_f64 v[32:33], v[18:19], s[20:21], -v[16:17]
	s_delay_alu instid0(VALU_DEP_1) | instskip(NEXT) | instid1(VALU_DEP_1)
	v_fmac_f64_e32 v[32:33], 0x3c91a62633145c07, v[18:19]
	v_fmac_f64_e32 v[32:33], 0x3ff921fb54442d18, v[0:1]
	s_delay_alu instid0(VALU_DEP_1) | instskip(NEXT) | instid1(VALU_DEP_1)
	v_add_f64_e32 v[48:49], v[16:17], v[32:33]
	v_add_f64_e64 v[0:1], v[48:49], -v[16:17]
	s_delay_alu instid0(VALU_DEP_1)
	v_add_f64_e64 v[50:51], v[32:33], -v[0:1]
	s_and_not1_saveexec_b32 s2, s2
	s_cbranch_execnz .LBB1_124
	s_branch .LBB1_125
.LBB1_123:                              ;   in Loop: Header=BB1_93 Depth=3
	s_and_not1_saveexec_b32 s2, s2
	s_cbranch_execz .LBB1_125
.LBB1_124:                              ;   in Loop: Header=BB1_93 Depth=3
	s_delay_alu instid0(VALU_DEP_1) | instskip(SKIP_2) | instid1(VALU_DEP_2)
	v_fma_f64 v[0:1], v[42:43], s[24:25], |v[106:107]|
	v_mul_f64_e32 v[16:17], 0xbc91a62633145c00, v[42:43]
	v_cvt_i32_f64_e32 v58, v[42:43]
	v_add_f64_e32 v[18:19], v[0:1], v[16:17]
	s_delay_alu instid0(VALU_DEP_1) | instskip(SKIP_1) | instid1(VALU_DEP_1)
	v_add_f64_e64 v[32:33], v[0:1], -v[18:19]
	v_fmamk_f64 v[0:1], v[42:43], 0xbc91a62633145c00, v[0:1]
	v_add_f64_e64 v[18:19], v[18:19], -v[0:1]
	s_delay_alu instid0(VALU_DEP_3) | instskip(SKIP_1) | instid1(VALU_DEP_2)
	v_add_f64_e32 v[32:33], v[32:33], v[16:17]
	v_fmamk_f64 v[16:17], v[42:43], 0x3c91a62633145c00, v[16:17]
	v_add_f64_e32 v[18:19], v[18:19], v[32:33]
	s_delay_alu instid0(VALU_DEP_1) | instskip(NEXT) | instid1(VALU_DEP_1)
	v_add_f64_e64 v[16:17], v[18:19], -v[16:17]
	v_fmac_f64_e32 v[16:17], 0xb97b839a252049c0, v[42:43]
	s_delay_alu instid0(VALU_DEP_1) | instskip(NEXT) | instid1(VALU_DEP_1)
	v_add_f64_e32 v[48:49], v[0:1], v[16:17]
	v_add_f64_e64 v[0:1], v[48:49], -v[0:1]
	s_delay_alu instid0(VALU_DEP_1)
	v_add_f64_e64 v[50:51], v[16:17], -v[0:1]
.LBB1_125:                              ;   in Loop: Header=BB1_93 Depth=3
	s_or_b32 exec_lo, exec_lo, s2
	scratch_load_b64 v[2:3], off, off offset:8 ; 8-byte Folded Reload
	v_mul_f64_e32 v[6:7], v[6:7], v[102:103]
	v_add_f64_e32 v[0:1], v[100:101], v[100:101]
	v_mov_b64_e32 v[72:73], v[126:127]
	v_fmamk_f64 v[16:17], v[82:83], 0x3fd3333333333333, v[126:127]
	v_mov_b64_e32 v[22:23], 0xbe5ae600b42fdfa7
	v_mov_b64_e32 v[12:13], 0x3e21eeb69037ab78
	v_fmamk_f64 v[42:43], v[80:81], 0xbfca12f684bda12f, v[74:75]
	v_lshlrev_b32_e32 v4, 30, v11
	v_fmac_f64_e32 v[16:17], 0xbfeccccccccccccd, v[104:105]
	s_delay_alu instid0(VALU_DEP_2) | instskip(NEXT) | instid1(VALU_DEP_4)
	v_xor_b32_e32 v4, v4, v99
	v_fmac_f64_e32 v[42:43], 0x40040000, v[92:93]
	v_div_scale_f64 v[32:33], null, v[6:7], v[6:7], 1.0
	s_delay_alu instid0(VALU_DEP_2) | instskip(NEXT) | instid1(VALU_DEP_2)
	v_fmac_f64_e32 v[42:43], 0xc004bda12f684bda, v[88:89]
	v_rcp_f64_e32 v[44:45], v[32:33]
	v_nop
	s_delay_alu instid0(TRANS32_DEP_1) | instskip(NEXT) | instid1(VALU_DEP_1)
	v_fma_f64 v[46:47], -v[32:33], v[44:45], 1.0
	v_fmac_f64_e32 v[44:45], v[44:45], v[46:47]
	s_delay_alu instid0(VALU_DEP_1) | instskip(NEXT) | instid1(VALU_DEP_1)
	v_fma_f64 v[46:47], -v[32:33], v[44:45], 1.0
	v_fmac_f64_e32 v[44:45], v[44:45], v[46:47]
	v_div_scale_f64 v[46:47], vcc_lo, 1.0, v[6:7], 1.0
	s_delay_alu instid0(VALU_DEP_1) | instskip(NEXT) | instid1(VALU_DEP_1)
	v_mul_f64_e32 v[56:57], v[46:47], v[44:45]
	v_fma_f64 v[32:33], -v[32:33], v[56:57], v[46:47]
	s_delay_alu instid0(VALU_DEP_1)
	v_div_fmas_f64 v[32:33], v[32:33], v[44:45], v[56:57]
	v_add_f64_e32 v[44:45], v[124:125], v[124:125]
	s_wait_loadcnt 0x0
	v_fmamk_f64 v[122:123], v[52:53], 0x3f9e3425ed097b42, v[2:3]
	scratch_load_b64 v[2:3], off, off       ; 8-byte Folded Reload
	v_fmac_f64_e32 v[122:123], 0x3fd5e000, v[96:97]
	v_div_fixup_f64 v[46:47], v[32:33], v[6:7], 1.0
	v_add_f64_e32 v[6:7], v[8:9], v[108:109]
	v_mul_f64_e32 v[44:45], v[124:125], v[44:45]
	s_delay_alu instid0(VALU_DEP_4) | instskip(NEXT) | instid1(VALU_DEP_3)
	v_fmac_f64_e32 v[122:123], 0x3fa54bda12f684be, v[84:85]
	v_mul_f64_e32 v[126:127], v[0:1], v[6:7]
	v_add_f64_e32 v[6:7], -1.0, v[100:101]
	s_delay_alu instid0(VALU_DEP_3) | instskip(SKIP_4) | instid1(VALU_DEP_1)
	v_fmac_f64_e32 v[122:123], 0x3fd99f425ed097b4, v[90:91]
	s_wait_loadcnt 0x0
	v_fmamk_f64 v[18:19], v[78:79], 0xbfca12f684bda12f, v[2:3]
	scratch_load_b64 v[2:3], off, off offset:16 ; 8-byte Folded Reload
	v_fmac_f64_e32 v[18:19], 0x40040000, v[94:95]
	v_fmac_f64_e32 v[18:19], 0xc004bda12f684bda, v[86:87]
	s_wait_loadcnt 0x0
	v_fma_f64 v[32:33], -v[2:3], v[6:7], v[126:127]
	scratch_load_b64 v[2:3], off, off offset:24 ; 8-byte Folded Reload
	v_mul_f64_e32 v[6:7], v[6:7], v[44:45]
	s_delay_alu instid0(VALU_DEP_1) | instskip(SKIP_3) | instid1(VALU_DEP_1)
	v_mul_f64_e32 v[6:7], v[6:7], v[36:37]
	s_wait_loadcnt 0x0
	v_add_f64_e64 v[32:33], v[32:33], -v[2:3]
	v_and_b32_e32 v2, 1, v11
	v_cmp_eq_u32_e32 vcc_lo, 0, v2
	v_mul_f64_e32 v[44:45], 0.5, v[120:121]
	s_delay_alu instid0(VALU_DEP_4) | instskip(SKIP_1) | instid1(VALU_DEP_2)
	v_fma_f64 v[6:7], v[32:33], v[46:47], -v[6:7]
	v_mul_f64_e32 v[32:33], v[110:111], v[110:111]
	v_mul_f64_e64 v[96:97], v[54:55], -v[6:7]
	s_delay_alu instid0(VALU_DEP_2) | instskip(SKIP_3) | instid1(VALU_DEP_3)
	v_mul_f64_e64 v[6:7], v[110:111], -v[32:33]
	v_fmamk_f64 v[36:37], v[32:33], 0x3de5e0b2f9a43bb8, v[22:23]
	v_fmamk_f64 v[60:61], v[32:33], 0xbda907db46cc5e42, v[12:13]
	v_mul_f64_e32 v[56:57], v[32:33], v[32:33]
	v_fmaak_f64 v[36:37], v[32:33], v[36:37], 0x3ec71de3796cde01
	s_delay_alu instid0(VALU_DEP_3) | instskip(NEXT) | instid1(VALU_DEP_2)
	v_fmaak_f64 v[60:61], v[32:33], v[60:61], 0xbe927e4fa17f65f6
	v_fmaak_f64 v[36:37], v[32:33], v[36:37], 0xbf2a01a019e83e5c
	s_delay_alu instid0(VALU_DEP_2) | instskip(NEXT) | instid1(VALU_DEP_2)
	v_fmaak_f64 v[60:61], v[32:33], v[60:61], 0x3efa01a019f4ec90
	v_fmaak_f64 v[36:37], v[32:33], v[36:37], 0x3f81111111110bb3
	s_delay_alu instid0(VALU_DEP_2) | instskip(SKIP_1) | instid1(VALU_DEP_3)
	v_fmaak_f64 v[60:61], v[32:33], v[60:61], 0xbf56c16c16c16967
	v_fmac_f64_e32 v[16:17], 0x3ff3333333333333, v[96:97]
	v_fmac_f64_e32 v[44:45], v[6:7], v[36:37]
	s_delay_alu instid0(VALU_DEP_1) | instskip(NEXT) | instid1(VALU_DEP_1)
	v_fma_f64 v[36:37], v[32:33], v[44:45], -v[120:121]
	v_fmac_f64_e32 v[36:37], 0xbfc5555555555555, v[6:7]
	s_delay_alu instid0(VALU_DEP_1) | instskip(SKIP_2) | instid1(VALU_DEP_2)
	v_add_f64_e64 v[6:7], v[110:111], -v[36:37]
	v_mul_f64_e32 v[36:37], 0.5, v[32:33]
	v_fmaak_f64 v[32:33], v[32:33], v[60:61], 0x3fa5555555555555
	v_add_f64_e64 v[44:45], -v[36:37], 1.0
	s_delay_alu instid0(VALU_DEP_1) | instskip(NEXT) | instid1(VALU_DEP_1)
	v_add_f64_e64 v[60:61], -v[44:45], 1.0
	v_add_f64_e64 v[36:37], v[60:61], -v[36:37]
	s_delay_alu instid0(VALU_DEP_1) | instskip(NEXT) | instid1(VALU_DEP_1)
	v_fma_f64 v[36:37], v[110:111], -v[120:121], v[36:37]
	v_fmac_f64_e32 v[36:37], v[56:57], v[32:33]
	s_delay_alu instid0(VALU_DEP_1) | instskip(NEXT) | instid1(VALU_DEP_1)
	v_add_f64_e32 v[32:33], v[44:45], v[36:37]
	v_dual_cndmask_b32 v3, v33, v7 :: v_dual_cndmask_b32 v2, v32, v6
	s_delay_alu instid0(VALU_DEP_1) | instskip(NEXT) | instid1(VALU_DEP_2)
	v_bitop3_b32 v3, v3, v4, 0x80000000 bitop3:0x78
	v_cndmask_b32_e64 v6, 0, v2, s0
	v_lshlrev_b32_e32 v4, 30, v58
	s_delay_alu instid0(VALU_DEP_3) | instskip(SKIP_2) | instid1(VALU_DEP_3)
	v_cndmask_b32_e64 v7, 0x7ff80000, v3, s0
	v_cmp_class_f64_e64 s0, v[106:107], 0x1f8
	v_and_b32_e32 v3, 1, v58
                                        ; implicit-def: $vgpr106
	v_mul_f64_e32 v[32:33], v[6:7], v[6:7]
	v_cmp_gt_f64_e32 vcc_lo, s[26:27], v[6:7]
	s_delay_alu instid0(VALU_DEP_2) | instskip(NEXT) | instid1(VALU_DEP_3)
	v_cndmask_b32_e64 v45, v33, 0x3c9cd2b2, vcc_lo
	v_cndmask_b32_e64 v44, v32, 0x97d889bc, vcc_lo
	;; [unrolled: 1-line block ×4, first 2 shown]
	v_fma_f64 v[32:33], -2.0, v[114:115], v[116:117]
	s_delay_alu instid0(VALU_DEP_2) | instskip(SKIP_1) | instid1(VALU_DEP_3)
	v_mul_f64_e64 v[6:7], -v[6:7], v[14:15]
	v_mul_f64_e32 v[14:15], v[44:45], v[44:45]
	v_add_f64_e32 v[56:57], v[8:9], v[32:33]
	s_delay_alu instid0(VALU_DEP_2) | instskip(NEXT) | instid1(VALU_DEP_2)
	v_div_scale_f64 v[36:37], null, v[14:15], v[14:15], v[28:29]
	v_mul_f64_e64 v[32:33], v[56:57], -v[16:17]
	s_delay_alu instid0(VALU_DEP_2) | instskip(NEXT) | instid1(VALU_DEP_1)
	v_rcp_f64_e32 v[60:61], v[36:37]
	v_mul_f64_e32 v[32:33], v[32:33], v[20:21]
	s_delay_alu instid0(TRANS32_DEP_1) | instskip(NEXT) | instid1(VALU_DEP_2)
	v_fma_f64 v[62:63], -v[36:37], v[60:61], 1.0
	v_mul_f64_e32 v[100:101], v[54:55], v[32:33]
	s_delay_alu instid0(VALU_DEP_2) | instskip(NEXT) | instid1(VALU_DEP_2)
	v_fmac_f64_e32 v[60:61], v[60:61], v[62:63]
	v_fmac_f64_e32 v[42:43], 0x3ff4bda12f684bda, v[100:101]
	s_delay_alu instid0(VALU_DEP_2) | instskip(NEXT) | instid1(VALU_DEP_2)
	v_fma_f64 v[62:63], -v[36:37], v[60:61], 1.0
	v_mul_f64_e32 v[58:59], v[42:43], v[42:43]
	s_delay_alu instid0(VALU_DEP_2) | instskip(SKIP_1) | instid1(VALU_DEP_1)
	v_fmac_f64_e32 v[60:61], v[60:61], v[62:63]
	v_div_scale_f64 v[62:63], vcc_lo, v[28:29], v[14:15], v[28:29]
	v_mul_f64_e32 v[64:65], v[62:63], v[60:61]
	s_delay_alu instid0(VALU_DEP_1) | instskip(NEXT) | instid1(VALU_DEP_1)
	v_fma_f64 v[36:37], -v[36:37], v[64:65], v[62:63]
	v_div_fmas_f64 v[36:37], v[36:37], v[60:61], v[64:65]
	v_cmp_eq_u32_e32 vcc_lo, 0, v3
	s_delay_alu instid0(VALU_DEP_2) | instskip(NEXT) | instid1(VALU_DEP_1)
	v_div_fixup_f64 v[14:15], v[36:37], v[14:15], v[28:29]
	v_add_f64_e64 v[14:15], v[14:15], -v[8:9]
	s_delay_alu instid0(VALU_DEP_1) | instskip(SKIP_1) | instid1(VALU_DEP_2)
	v_mul_f64_e32 v[6:7], v[14:15], v[6:7]
	v_mul_f64_e32 v[14:15], v[48:49], v[48:49]
	;; [unrolled: 1-line block ×3, first 2 shown]
	s_delay_alu instid0(VALU_DEP_2) | instskip(NEXT) | instid1(VALU_DEP_1)
	v_fmamk_f64 v[60:61], v[14:15], 0xbda907db46cc5e42, v[12:13]
	v_fmaak_f64 v[60:61], v[14:15], v[60:61], 0xbe927e4fa17f65f6
	s_delay_alu instid0(VALU_DEP_1) | instskip(NEXT) | instid1(VALU_DEP_1)
	v_fmaak_f64 v[60:61], v[14:15], v[60:61], 0x3efa01a019f4ec90
	v_fmaak_f64 v[60:61], v[14:15], v[60:61], 0xbf56c16c16c16967
	s_delay_alu instid0(VALU_DEP_1) | instskip(SKIP_2) | instid1(VALU_DEP_2)
	v_fmaak_f64 v[60:61], v[14:15], v[60:61], 0x3fa5555555555555
	v_mul_f64_e32 v[98:99], v[54:55], v[6:7]
	v_mul_f64_e32 v[6:7], 0.5, v[14:15]
	v_fmac_f64_e32 v[18:19], 0x3ff4bda12f684bda, v[98:99]
	s_delay_alu instid0(VALU_DEP_2) | instskip(NEXT) | instid1(VALU_DEP_1)
	v_add_f64_e64 v[32:33], -v[6:7], 1.0
	v_add_f64_e64 v[36:37], -v[32:33], 1.0
	s_delay_alu instid0(VALU_DEP_1) | instskip(SKIP_1) | instid1(VALU_DEP_2)
	v_add_f64_e64 v[6:7], v[36:37], -v[6:7]
	v_mul_f64_e32 v[36:37], v[14:15], v[14:15]
	v_fma_f64 v[6:7], v[48:49], -v[50:51], v[6:7]
	s_delay_alu instid0(VALU_DEP_1) | instskip(SKIP_1) | instid1(VALU_DEP_2)
	v_fmac_f64_e32 v[6:7], v[36:37], v[60:61]
	v_mul_f64_e32 v[60:61], 0.5, v[50:51]
	v_add_f64_e32 v[6:7], v[32:33], v[6:7]
	v_fmamk_f64 v[32:33], v[14:15], 0x3de5e0b2f9a43bb8, v[22:23]
	s_delay_alu instid0(VALU_DEP_1) | instskip(NEXT) | instid1(VALU_DEP_1)
	v_fmaak_f64 v[32:33], v[14:15], v[32:33], 0x3ec71de3796cde01
	v_fmaak_f64 v[32:33], v[14:15], v[32:33], 0xbf2a01a019e83e5c
	s_delay_alu instid0(VALU_DEP_1) | instskip(SKIP_1) | instid1(VALU_DEP_1)
	v_fmaak_f64 v[36:37], v[14:15], v[32:33], 0x3f81111111110bb3
	v_mul_f64_e64 v[32:33], v[48:49], -v[14:15]
	v_fmac_f64_e32 v[60:61], v[32:33], v[36:37]
	s_delay_alu instid0(VALU_DEP_1) | instskip(NEXT) | instid1(VALU_DEP_1)
	v_fma_f64 v[14:15], v[14:15], v[60:61], -v[50:51]
	v_fmac_f64_e32 v[14:15], 0xbfc5555555555555, v[32:33]
	s_delay_alu instid0(VALU_DEP_1) | instskip(NEXT) | instid1(VALU_DEP_1)
	v_add_f64_e64 v[14:15], v[48:49], -v[14:15]
	v_xor_b32_e32 v2, 0x80000000, v15
	s_delay_alu instid0(VALU_DEP_2) | instskip(NEXT) | instid1(VALU_DEP_2)
	v_cndmask_b32_e32 v3, v14, v6, vcc_lo
	v_cndmask_b32_e32 v2, v2, v7, vcc_lo
	s_delay_alu instid0(VALU_DEP_2) | instskip(NEXT) | instid1(VALU_DEP_2)
	v_cndmask_b32_e64 v48, 0, v3, s0
	v_bitop3_b32 v2, v2, v4, 0x80000000 bitop3:0x78
	s_delay_alu instid0(VALU_DEP_1) | instskip(NEXT) | instid1(VALU_DEP_1)
	v_cndmask_b32_e64 v49, 0x7ff80000, v2, s0
	v_mul_f64_e32 v[6:7], v[48:49], v[48:49]
	s_delay_alu instid0(VALU_DEP_1) | instskip(NEXT) | instid1(VALU_DEP_1)
	v_fma_f64 v[62:63], v[8:9], v[6:7], v[58:59]
	v_div_scale_f64 v[6:7], null, v[62:63], v[62:63], 1.0
	s_delay_alu instid0(VALU_DEP_1) | instskip(SKIP_1) | instid1(TRANS32_DEP_1)
	v_rcp_f64_e32 v[14:15], v[6:7]
	v_nop
	v_fma_f64 v[32:33], -v[6:7], v[14:15], 1.0
	s_delay_alu instid0(VALU_DEP_1) | instskip(NEXT) | instid1(VALU_DEP_1)
	v_fmac_f64_e32 v[14:15], v[14:15], v[32:33]
	v_fma_f64 v[32:33], -v[6:7], v[14:15], 1.0
	s_delay_alu instid0(VALU_DEP_1) | instskip(SKIP_1) | instid1(VALU_DEP_1)
	v_fmac_f64_e32 v[14:15], v[14:15], v[32:33]
	v_div_scale_f64 v[32:33], vcc_lo, 1.0, v[62:63], 1.0
	v_mul_f64_e32 v[36:37], v[32:33], v[14:15]
	s_delay_alu instid0(VALU_DEP_1) | instskip(NEXT) | instid1(VALU_DEP_1)
	v_fma_f64 v[6:7], -v[6:7], v[36:37], v[32:33]
	v_div_fmas_f64 v[6:7], v[6:7], v[14:15], v[36:37]
                                        ; implicit-def: $vgpr14_vgpr15
	s_delay_alu instid0(VALU_DEP_1) | instskip(NEXT) | instid1(VALU_DEP_1)
	v_div_fixup_f64 v[64:65], v[6:7], v[62:63], 1.0
	v_mul_f64_e64 v[6:7], v[64:65], -v[18:19]
	s_delay_alu instid0(VALU_DEP_1) | instskip(NEXT) | instid1(VALU_DEP_1)
	v_mul_f64_e32 v[50:51], v[54:55], v[6:7]
                                        ; implicit-def: $vgpr6_vgpr7
	v_fmac_f64_e32 v[122:123], 0x3fafa000, v[50:51]
	s_delay_alu instid0(VALU_DEP_1)
	v_cmp_ngt_f64_e64 s2, 0x41d00000, |v[122:123]|
	v_trig_preop_f64 v[108:109], |v[122:123]|, 0
	v_trig_preop_f64 v[36:37], |v[122:123]|, 1
	v_ldexp_f64 v[110:111], |v[122:123]|, 0xffffff80
	v_trig_preop_f64 v[32:33], |v[122:123]|, 2
	v_and_b32_e32 v124, 0x7fffffff, v123
	s_wait_xcnt 0x0
	s_and_saveexec_b32 s33, s2
	s_delay_alu instid0(SALU_CYCLE_1)
	s_xor_b32 s33, exec_lo, s33
	s_cbranch_execz .LBB1_127
; %bb.126:                              ;   in Loop: Header=BB1_93 Depth=3
	v_cmp_le_f64_e64 vcc_lo, 0x7b000000, |v[122:123]|
	s_delay_alu instid0(VALU_DEP_4) | instskip(NEXT) | instid1(VALU_DEP_1)
	v_dual_cndmask_b32 v19, v124, v111 :: v_dual_cndmask_b32 v18, v122, v110
	v_mul_f64_e32 v[60:61], v[108:109], v[18:19]
	v_mul_f64_e32 v[6:7], v[36:37], v[18:19]
	;; [unrolled: 1-line block ×3, first 2 shown]
	s_delay_alu instid0(VALU_DEP_3) | instskip(NEXT) | instid1(VALU_DEP_1)
	v_fma_f64 v[120:121], v[108:109], v[18:19], -v[60:61]
	v_add_f64_e32 v[12:13], v[6:7], v[120:121]
	s_delay_alu instid0(VALU_DEP_1) | instskip(NEXT) | instid1(VALU_DEP_1)
	v_add_f64_e32 v[4:5], v[60:61], v[12:13]
	v_ldexp_f64 v[14:15], v[4:5], -2
	s_delay_alu instid0(VALU_DEP_1) | instskip(SKIP_1) | instid1(VALU_DEP_2)
	v_fract_f64_e32 v[2:3], v[14:15]
	v_cmp_neq_f64_e64 vcc_lo, 0x7ff00000, |v[14:15]|
	v_ldexp_f64 v[2:3], v[2:3], 2
	s_delay_alu instid0(VALU_DEP_1) | instskip(SKIP_1) | instid1(VALU_DEP_3)
	v_cndmask_b32_e32 v3, 0, v3, vcc_lo
	v_add_f64_e64 v[30:31], v[12:13], -v[6:7]
	v_dual_add_f64 v[4:5], v[4:5], -v[60:61] :: v_dual_cndmask_b32 v2, 0, v2, vcc_lo
	s_delay_alu instid0(VALU_DEP_2) | instskip(SKIP_1) | instid1(VALU_DEP_3)
	v_add_f64_e64 v[120:121], v[120:121], -v[30:31]
	v_add_f64_e64 v[30:31], v[12:13], -v[30:31]
	;; [unrolled: 1-line block ×3, first 2 shown]
	s_delay_alu instid0(VALU_DEP_2) | instskip(NEXT) | instid1(VALU_DEP_1)
	v_add_f64_e64 v[30:31], v[6:7], -v[30:31]
	v_add_f64_e32 v[30:31], v[120:121], v[30:31]
	v_fma_f64 v[120:121], v[36:37], v[18:19], -v[6:7]
	v_fma_f64 v[18:19], v[32:33], v[18:19], -v[24:25]
	s_delay_alu instid0(VALU_DEP_2) | instskip(NEXT) | instid1(VALU_DEP_1)
	v_add_f64_e32 v[22:23], v[24:25], v[120:121]
	v_add_f64_e32 v[66:67], v[22:23], v[30:31]
	s_delay_alu instid0(VALU_DEP_1) | instskip(SKIP_1) | instid1(VALU_DEP_2)
	v_add_f64_e64 v[12:13], v[66:67], -v[22:23]
	v_add_f64_e32 v[6:7], v[4:5], v[66:67]
	v_add_f64_e64 v[30:31], v[30:31], -v[12:13]
	v_add_f64_e64 v[12:13], v[66:67], -v[12:13]
	s_delay_alu instid0(VALU_DEP_3) | instskip(NEXT) | instid1(VALU_DEP_2)
	v_add_f64_e64 v[4:5], v[6:7], -v[4:5]
	v_add_f64_e64 v[12:13], v[22:23], -v[12:13]
	s_delay_alu instid0(VALU_DEP_2) | instskip(NEXT) | instid1(VALU_DEP_2)
	v_add_f64_e64 v[4:5], v[66:67], -v[4:5]
	v_add_f64_e32 v[12:13], v[30:31], v[12:13]
	v_add_f64_e64 v[30:31], v[22:23], -v[24:25]
	s_delay_alu instid0(VALU_DEP_1) | instskip(SKIP_1) | instid1(VALU_DEP_2)
	v_add_f64_e64 v[22:23], v[22:23], -v[30:31]
	v_add_f64_e64 v[60:61], v[120:121], -v[30:31]
	;; [unrolled: 1-line block ×3, first 2 shown]
	s_delay_alu instid0(VALU_DEP_1) | instskip(NEXT) | instid1(VALU_DEP_1)
	v_add_f64_e32 v[22:23], v[60:61], v[22:23]
	v_add_f64_e32 v[12:13], v[22:23], v[12:13]
	s_delay_alu instid0(VALU_DEP_1) | instskip(NEXT) | instid1(VALU_DEP_1)
	v_add_f64_e32 v[12:13], v[18:19], v[12:13]
	v_add_f64_e32 v[18:19], v[4:5], v[12:13]
	;; [unrolled: 1-line block ×3, first 2 shown]
	s_delay_alu instid0(VALU_DEP_1) | instskip(SKIP_1) | instid1(VALU_DEP_1)
	v_cmp_gt_f64_e32 vcc_lo, 0, v[4:5]
	v_cndmask_b32_e64 v41, 0, 0x40100000, vcc_lo
	v_add_f64_e32 v[2:3], v[2:3], v[40:41]
	s_delay_alu instid0(VALU_DEP_1) | instskip(NEXT) | instid1(VALU_DEP_1)
	v_add_f64_e32 v[4:5], v[6:7], v[2:3]
	v_cvt_i32_f64_e32 v11, v[4:5]
	s_delay_alu instid0(VALU_DEP_1) | instskip(NEXT) | instid1(VALU_DEP_1)
	v_cvt_f64_i32_e32 v[4:5], v11
	v_add_f64_e64 v[2:3], v[2:3], -v[4:5]
	s_delay_alu instid0(VALU_DEP_1) | instskip(NEXT) | instid1(VALU_DEP_1)
	v_add_f64_e32 v[4:5], v[6:7], v[2:3]
	v_add_f64_e64 v[2:3], v[4:5], -v[2:3]
	v_cmp_le_f64_e32 vcc_lo, 0.5, v[4:5]
	s_delay_alu instid0(VALU_DEP_2) | instskip(SKIP_2) | instid1(VALU_DEP_2)
	v_add_f64_e64 v[2:3], v[6:7], -v[2:3]
	v_cndmask_b32_e64 v41, 0, 0x3ff00000, vcc_lo
	v_add_co_ci_u32_e64 v106, null, 0, v11, vcc_lo
	v_add_f64_e64 v[4:5], v[4:5], -v[40:41]
	s_delay_alu instid0(VALU_DEP_4) | instskip(NEXT) | instid1(VALU_DEP_1)
	v_add_f64_e32 v[2:3], v[18:19], v[2:3]
	v_add_f64_e32 v[6:7], v[4:5], v[2:3]
	s_delay_alu instid0(VALU_DEP_1) | instskip(NEXT) | instid1(VALU_DEP_1)
	v_add_f64_e64 v[4:5], v[6:7], -v[4:5]
	v_add_f64_e64 v[2:3], v[2:3], -v[4:5]
	v_mul_f64_e32 v[4:5], 0x3ff921fb54442d18, v[6:7]
	s_delay_alu instid0(VALU_DEP_1) | instskip(NEXT) | instid1(VALU_DEP_1)
	v_fma_f64 v[12:13], v[6:7], s[20:21], -v[4:5]
	v_fmac_f64_e32 v[12:13], 0x3c91a62633145c07, v[6:7]
	s_delay_alu instid0(VALU_DEP_1) | instskip(NEXT) | instid1(VALU_DEP_1)
	v_fmac_f64_e32 v[12:13], 0x3ff921fb54442d18, v[2:3]
	v_add_f64_e32 v[14:15], v[4:5], v[12:13]
	s_delay_alu instid0(VALU_DEP_1) | instskip(NEXT) | instid1(VALU_DEP_1)
	v_add_f64_e64 v[2:3], v[14:15], -v[4:5]
	v_add_f64_e64 v[6:7], v[12:13], -v[2:3]
.LBB1_127:                              ;   in Loop: Header=BB1_93 Depth=3
	s_or_saveexec_b32 s33, s33
	v_mul_f64_e64 v[18:19], |v[122:123]|, s[22:23]
	s_delay_alu instid0(VALU_DEP_1)
	v_rndne_f64_e32 v[120:121], v[18:19]
	s_xor_b32 exec_lo, exec_lo, s33
	s_cbranch_execz .LBB1_129
; %bb.128:                              ;   in Loop: Header=BB1_93 Depth=3
	s_delay_alu instid0(VALU_DEP_1) | instskip(SKIP_2) | instid1(VALU_DEP_2)
	v_fma_f64 v[6:7], v[120:121], s[24:25], |v[122:123]|
	v_mul_f64_e32 v[14:15], 0xbc91a62633145c00, v[120:121]
	v_cvt_i32_f64_e32 v106, v[120:121]
	v_add_f64_e32 v[18:19], v[6:7], v[14:15]
	s_delay_alu instid0(VALU_DEP_1) | instskip(SKIP_1) | instid1(VALU_DEP_1)
	v_add_f64_e64 v[60:61], v[6:7], -v[18:19]
	v_fmamk_f64 v[6:7], v[120:121], 0xbc91a62633145c00, v[6:7]
	v_add_f64_e64 v[18:19], v[18:19], -v[6:7]
	s_delay_alu instid0(VALU_DEP_3) | instskip(SKIP_1) | instid1(VALU_DEP_2)
	v_add_f64_e32 v[60:61], v[60:61], v[14:15]
	v_fmamk_f64 v[14:15], v[120:121], 0x3c91a62633145c00, v[14:15]
	v_add_f64_e32 v[18:19], v[18:19], v[60:61]
	s_delay_alu instid0(VALU_DEP_1) | instskip(NEXT) | instid1(VALU_DEP_1)
	v_add_f64_e64 v[18:19], v[18:19], -v[14:15]
	v_fmac_f64_e32 v[18:19], 0xb97b839a252049c0, v[120:121]
	s_delay_alu instid0(VALU_DEP_1) | instskip(NEXT) | instid1(VALU_DEP_1)
	v_add_f64_e32 v[14:15], v[6:7], v[18:19]
	v_add_f64_e64 v[6:7], v[14:15], -v[6:7]
	s_delay_alu instid0(VALU_DEP_1)
	v_add_f64_e64 v[6:7], v[18:19], -v[6:7]
.LBB1_129:                              ;   in Loop: Header=BB1_93 Depth=3
	s_or_b32 exec_lo, exec_lo, s33
                                        ; implicit-def: $vgpr11
                                        ; implicit-def: $vgpr18_vgpr19
                                        ; implicit-def: $vgpr60_vgpr61
	s_and_saveexec_b32 s33, s2
	s_delay_alu instid0(SALU_CYCLE_1)
	s_xor_b32 s2, exec_lo, s33
	s_cbranch_execz .LBB1_131
; %bb.130:                              ;   in Loop: Header=BB1_93 Depth=3
	v_cmp_le_f64_e64 vcc_lo, 0x7b000000, |v[122:123]|
                                        ; implicit-def: $vgpr120_vgpr121
	v_dual_cndmask_b32 v3, v124, v111 :: v_dual_cndmask_b32 v2, v122, v110
	s_delay_alu instid0(VALU_DEP_1) | instskip(SKIP_1) | instid1(VALU_DEP_2)
	v_mul_f64_e32 v[12:13], v[108:109], v[2:3]
	v_mul_f64_e32 v[4:5], v[36:37], v[2:3]
	v_fma_f64 v[18:19], v[108:109], v[2:3], -v[12:13]
	s_delay_alu instid0(VALU_DEP_1) | instskip(NEXT) | instid1(VALU_DEP_1)
	v_add_f64_e32 v[22:23], v[4:5], v[18:19]
	v_add_f64_e32 v[24:25], v[12:13], v[22:23]
	s_delay_alu instid0(VALU_DEP_1) | instskip(SKIP_1) | instid1(VALU_DEP_2)
	v_ldexp_f64 v[60:61], v[24:25], -2
	v_add_f64_e64 v[12:13], v[24:25], -v[12:13]
	v_cmp_neq_f64_e64 vcc_lo, 0x7ff00000, |v[60:61]|
	v_add_f64_e64 v[66:67], v[22:23], -v[4:5]
	s_delay_alu instid0(VALU_DEP_3) | instskip(SKIP_1) | instid1(VALU_DEP_3)
	v_add_f64_e64 v[12:13], v[22:23], -v[12:13]
	v_fract_f64_e32 v[30:31], v[60:61]
	v_add_f64_e64 v[18:19], v[18:19], -v[66:67]
	v_add_f64_e64 v[66:67], v[22:23], -v[66:67]
	s_delay_alu instid0(VALU_DEP_1) | instskip(SKIP_2) | instid1(VALU_DEP_3)
	v_add_f64_e64 v[66:67], v[4:5], -v[66:67]
	v_fma_f64 v[4:5], v[36:37], v[2:3], -v[4:5]
	v_mul_f64_e32 v[36:37], v[32:33], v[2:3]
	v_add_f64_e32 v[66:67], v[18:19], v[66:67]
	s_delay_alu instid0(VALU_DEP_2) | instskip(SKIP_1) | instid1(VALU_DEP_2)
	v_add_f64_e32 v[108:109], v[36:37], v[4:5]
	v_fma_f64 v[2:3], v[32:33], v[2:3], -v[36:37]
	v_add_f64_e32 v[110:111], v[108:109], v[66:67]
	s_delay_alu instid0(VALU_DEP_1) | instskip(SKIP_1) | instid1(VALU_DEP_2)
	v_add_f64_e64 v[22:23], v[110:111], -v[108:109]
	v_add_f64_e32 v[18:19], v[12:13], v[110:111]
	v_add_f64_e64 v[24:25], v[66:67], -v[22:23]
	v_add_f64_e64 v[22:23], v[110:111], -v[22:23]
	s_delay_alu instid0(VALU_DEP_3) | instskip(NEXT) | instid1(VALU_DEP_2)
	v_add_f64_e64 v[12:13], v[18:19], -v[12:13]
	v_add_f64_e64 v[22:23], v[108:109], -v[22:23]
	s_delay_alu instid0(VALU_DEP_2) | instskip(NEXT) | instid1(VALU_DEP_2)
	v_add_f64_e64 v[12:13], v[110:111], -v[12:13]
	v_add_f64_e32 v[22:23], v[24:25], v[22:23]
	v_add_f64_e64 v[24:25], v[108:109], -v[36:37]
	s_delay_alu instid0(VALU_DEP_1) | instskip(SKIP_1) | instid1(VALU_DEP_1)
	v_add_f64_e64 v[4:5], v[4:5], -v[24:25]
	v_add_f64_e64 v[24:25], v[108:109], -v[24:25]
	;; [unrolled: 1-line block ×3, first 2 shown]
	s_delay_alu instid0(VALU_DEP_1) | instskip(NEXT) | instid1(VALU_DEP_1)
	v_add_f64_e32 v[4:5], v[4:5], v[24:25]
	v_add_f64_e32 v[4:5], v[4:5], v[22:23]
	s_delay_alu instid0(VALU_DEP_1) | instskip(NEXT) | instid1(VALU_DEP_1)
	v_add_f64_e32 v[2:3], v[2:3], v[4:5]
	v_add_f64_e32 v[32:33], v[12:13], v[2:3]
	v_ldexp_f64 v[2:3], v[30:31], 2
	s_delay_alu instid0(VALU_DEP_1) | instskip(NEXT) | instid1(VALU_DEP_1)
	v_dual_cndmask_b32 v3, 0, v3 :: v_dual_cndmask_b32 v2, 0, v2
	v_add_f64_e32 v[4:5], v[18:19], v[2:3]
	s_delay_alu instid0(VALU_DEP_1) | instskip(SKIP_1) | instid1(VALU_DEP_1)
	v_cmp_gt_f64_e32 vcc_lo, 0, v[4:5]
	v_cndmask_b32_e64 v41, 0, 0x40100000, vcc_lo
	v_add_f64_e32 v[2:3], v[2:3], v[40:41]
	s_delay_alu instid0(VALU_DEP_1) | instskip(NEXT) | instid1(VALU_DEP_1)
	v_add_f64_e32 v[4:5], v[18:19], v[2:3]
	v_cvt_i32_f64_e32 v11, v[4:5]
	s_delay_alu instid0(VALU_DEP_1) | instskip(NEXT) | instid1(VALU_DEP_1)
	v_cvt_f64_i32_e32 v[4:5], v11
	v_add_f64_e64 v[2:3], v[2:3], -v[4:5]
	s_delay_alu instid0(VALU_DEP_1) | instskip(NEXT) | instid1(VALU_DEP_1)
	v_add_f64_e32 v[4:5], v[18:19], v[2:3]
	v_add_f64_e64 v[2:3], v[4:5], -v[2:3]
	v_cmp_le_f64_e32 vcc_lo, 0.5, v[4:5]
	s_delay_alu instid0(VALU_DEP_2) | instskip(SKIP_2) | instid1(VALU_DEP_2)
	v_add_f64_e64 v[2:3], v[18:19], -v[2:3]
	v_cndmask_b32_e64 v41, 0, 0x3ff00000, vcc_lo
	v_add_co_ci_u32_e64 v11, null, 0, v11, vcc_lo
	v_add_f64_e64 v[4:5], v[4:5], -v[40:41]
	s_delay_alu instid0(VALU_DEP_4) | instskip(NEXT) | instid1(VALU_DEP_1)
	v_add_f64_e32 v[2:3], v[32:33], v[2:3]
	v_add_f64_e32 v[12:13], v[4:5], v[2:3]
	s_delay_alu instid0(VALU_DEP_1) | instskip(NEXT) | instid1(VALU_DEP_1)
	v_add_f64_e64 v[4:5], v[12:13], -v[4:5]
	v_add_f64_e64 v[2:3], v[2:3], -v[4:5]
	v_mul_f64_e32 v[4:5], 0x3ff921fb54442d18, v[12:13]
	s_delay_alu instid0(VALU_DEP_1) | instskip(NEXT) | instid1(VALU_DEP_1)
	v_fma_f64 v[22:23], v[12:13], s[20:21], -v[4:5]
	v_fmac_f64_e32 v[22:23], 0x3c91a62633145c07, v[12:13]
	s_delay_alu instid0(VALU_DEP_1) | instskip(NEXT) | instid1(VALU_DEP_1)
	v_fmac_f64_e32 v[22:23], 0x3ff921fb54442d18, v[2:3]
	v_add_f64_e32 v[18:19], v[4:5], v[22:23]
	s_delay_alu instid0(VALU_DEP_1) | instskip(NEXT) | instid1(VALU_DEP_1)
	v_add_f64_e64 v[2:3], v[18:19], -v[4:5]
	v_add_f64_e64 v[60:61], v[22:23], -v[2:3]
	s_and_not1_saveexec_b32 s2, s2
	s_cbranch_execnz .LBB1_132
	s_branch .LBB1_133
.LBB1_131:                              ;   in Loop: Header=BB1_93 Depth=3
	s_and_not1_saveexec_b32 s2, s2
	s_cbranch_execz .LBB1_133
.LBB1_132:                              ;   in Loop: Header=BB1_93 Depth=3
	s_delay_alu instid0(VALU_DEP_1) | instskip(SKIP_2) | instid1(VALU_DEP_2)
	v_fma_f64 v[2:3], v[120:121], s[24:25], |v[122:123]|
	v_mul_f64_e32 v[4:5], 0xbc91a62633145c00, v[120:121]
	v_cvt_i32_f64_e32 v11, v[120:121]
	v_add_f64_e32 v[12:13], v[2:3], v[4:5]
	s_delay_alu instid0(VALU_DEP_1) | instskip(SKIP_1) | instid1(VALU_DEP_1)
	v_add_f64_e64 v[18:19], v[2:3], -v[12:13]
	v_fmamk_f64 v[2:3], v[120:121], 0xbc91a62633145c00, v[2:3]
	v_add_f64_e64 v[12:13], v[12:13], -v[2:3]
	s_delay_alu instid0(VALU_DEP_3) | instskip(SKIP_1) | instid1(VALU_DEP_2)
	v_add_f64_e32 v[18:19], v[18:19], v[4:5]
	v_fmamk_f64 v[4:5], v[120:121], 0x3c91a62633145c00, v[4:5]
	v_add_f64_e32 v[12:13], v[12:13], v[18:19]
	s_delay_alu instid0(VALU_DEP_1) | instskip(NEXT) | instid1(VALU_DEP_1)
	v_add_f64_e64 v[4:5], v[12:13], -v[4:5]
	v_fmac_f64_e32 v[4:5], 0xb97b839a252049c0, v[120:121]
	s_delay_alu instid0(VALU_DEP_1) | instskip(NEXT) | instid1(VALU_DEP_1)
	v_add_f64_e32 v[18:19], v[2:3], v[4:5]
	v_add_f64_e64 v[2:3], v[18:19], -v[2:3]
	s_delay_alu instid0(VALU_DEP_1)
	v_add_f64_e64 v[60:61], v[4:5], -v[2:3]
.LBB1_133:                              ;   in Loop: Header=BB1_93 Depth=3
	s_or_b32 exec_lo, exec_lo, s2
	s_clause 0x2
	scratch_load_b64 v[22:23], off, off offset:64
	scratch_load_b64 v[24:25], off, off offset:72
	;; [unrolled: 1-line block ×3, first 2 shown]
	v_add_f64_e64 v[102:103], v[102:103], -v[0:1]
	v_mul_f64_e32 v[36:37], s[8:9], v[0:1]
	v_mul_f64_e32 v[4:5], 0x3f71965965965970, v[80:81]
	;; [unrolled: 1-line block ×4, first 2 shown]
	v_add_f64_e32 v[2:3], v[114:115], v[114:115]
	v_mul_f64_e32 v[66:67], 0x3f71965965965970, v[78:79]
	v_mov_b64_e32 v[74:75], v[72:73]
	s_mov_b32 s2, -1
	scratch_load_b64 v[26:27], off, off offset:24 ; 8-byte Folded Reload
	v_fmamk_f64 v[32:33], v[82:83], 0xbfca12f684bda12f, v[74:75]
	s_delay_alu instid0(VALU_DEP_1) | instskip(NEXT) | instid1(VALU_DEP_1)
	v_fmac_f64_e32 v[32:33], 0x40040000, v[104:105]
	v_fmac_f64_e32 v[32:33], 0xc004bda12f684bda, v[96:97]
	s_wait_loadcnt 0x3
	v_mul_f64_e32 v[110:111], v[22:23], v[54:55]
	s_wait_loadcnt 0x2
	v_mul_f64_e64 v[108:109], v[54:55], -v[24:25]
	s_wait_loadcnt 0x1
	v_mul_f64_e32 v[102:103], v[76:77], v[102:103]
	v_fma_f64 v[36:37], -v[76:77], v[36:37], v[126:127]
	s_delay_alu instid0(VALU_DEP_4) | instskip(NEXT) | instid1(VALU_DEP_4)
	v_mul_f64_e32 v[22:23], 0x3f71965965965970, v[110:111]
	v_mul_f64_e32 v[24:25], 0x3f71965965965970, v[108:109]
	s_delay_alu instid0(VALU_DEP_4) | instskip(NEXT) | instid1(VALU_DEP_1)
	v_div_scale_f64 v[120:121], null, v[112:113], v[112:113], v[102:103]
	v_rcp_f64_e32 v[124:125], v[120:121]
	v_nop
	s_delay_alu instid0(TRANS32_DEP_1) | instskip(NEXT) | instid1(VALU_DEP_1)
	v_fma_f64 v[68:69], -v[120:121], v[124:125], 1.0
	v_fmac_f64_e32 v[124:125], v[124:125], v[68:69]
	s_delay_alu instid0(VALU_DEP_1) | instskip(NEXT) | instid1(VALU_DEP_1)
	v_fma_f64 v[68:69], -v[120:121], v[124:125], 1.0
	v_fmac_f64_e32 v[124:125], v[124:125], v[68:69]
	v_div_scale_f64 v[68:69], vcc_lo, v[102:103], v[112:113], v[102:103]
	s_delay_alu instid0(VALU_DEP_1) | instskip(NEXT) | instid1(VALU_DEP_1)
	v_mul_f64_e32 v[70:71], v[68:69], v[124:125]
	v_fma_f64 v[68:69], -v[120:121], v[70:71], v[68:69]
	v_fma_f64 v[120:121], v[86:87], s[28:29], -v[66:67]
	s_delay_alu instid0(VALU_DEP_2) | instskip(SKIP_2) | instid1(VALU_DEP_4)
	v_div_fmas_f64 v[68:69], v[68:69], v[124:125], v[70:71]
	v_fma_f64 v[124:125], v[96:97], s[28:29], -v[30:31]
	v_mov_b64_e32 v[70:71], 0xbe5ae600b42fdfa7
	v_fmac_f64_e32 v[120:121], 0xbfa17cc48676f310, v[98:99]
	s_delay_alu instid0(VALU_DEP_4) | instskip(NEXT) | instid1(VALU_DEP_1)
	v_div_fixup_f64 v[68:69], v[68:69], v[112:113], v[102:103]
	v_fmac_f64_e32 v[68:69], s[8:9], v[0:1]
	s_delay_alu instid0(VALU_DEP_1)
	v_mul_f64_e64 v[0:1], v[46:47], -v[68:69]
	v_fma_f64 v[68:69], v[36:37], v[46:47], 1.0
	v_fma_f64 v[46:47], v[88:89], s[28:29], -v[4:5]
	v_mul_f64_e32 v[4:5], v[56:57], v[118:119]
	v_fma_f64 v[36:37], v[84:85], s[28:29], -v[12:13]
	v_mul_f64_e32 v[102:103], v[54:55], v[0:1]
	v_mul_f64_e64 v[112:113], v[54:55], -v[68:69]
	v_fmac_f64_e32 v[46:47], 0xbfa17cc48676f310, v[100:101]
	v_div_scale_f64 v[12:13], null, v[4:5], v[4:5], 1.0
	v_fmac_f64_e32 v[36:37], 0xbfa17cc48676f310, v[90:91]
	v_mov_b64_e32 v[68:69], 0xbe5ae600b42fdfa7
	v_fma_f64 v[0:1], v[102:103], s[28:29], -v[22:23]
	v_fma_f64 v[126:127], v[112:113], s[28:29], -v[24:25]
	v_rcp_f64_e32 v[22:23], v[12:13]
	s_delay_alu instid0(VALU_DEP_4) | instskip(NEXT) | instid1(TRANS32_DEP_1)
	v_fmac_f64_e32 v[36:37], 0xbf93c92492492492, v[50:51]
	v_fma_f64 v[24:25], -v[12:13], v[22:23], 1.0
	s_delay_alu instid0(VALU_DEP_1) | instskip(NEXT) | instid1(VALU_DEP_1)
	v_fmac_f64_e32 v[22:23], v[22:23], v[24:25]
	v_fma_f64 v[24:25], -v[12:13], v[22:23], 1.0
	s_delay_alu instid0(VALU_DEP_1) | instskip(SKIP_1) | instid1(VALU_DEP_1)
	v_fmac_f64_e32 v[22:23], v[22:23], v[24:25]
	v_div_scale_f64 v[24:25], vcc_lo, 1.0, v[4:5], 1.0
	v_mul_f64_e32 v[30:31], v[24:25], v[22:23]
	s_delay_alu instid0(VALU_DEP_1) | instskip(NEXT) | instid1(VALU_DEP_1)
	v_fma_f64 v[12:13], -v[12:13], v[30:31], v[24:25]
	v_div_fmas_f64 v[12:13], v[12:13], v[22:23], v[30:31]
	v_add_f64_e64 v[22:23], v[118:119], -v[2:3]
	s_delay_alu instid0(VALU_DEP_2) | instskip(NEXT) | instid1(VALU_DEP_2)
	v_div_fixup_f64 v[4:5], v[12:13], v[4:5], 1.0
	v_mul_f64_e32 v[22:23], v[76:77], v[22:23]
	v_mul_f64_e32 v[12:13], s[8:9], v[2:3]
	s_delay_alu instid0(VALU_DEP_2) | instskip(NEXT) | instid1(VALU_DEP_1)
	v_div_scale_f64 v[24:25], null, v[44:45], v[44:45], v[22:23]
	v_rcp_f64_e32 v[30:31], v[24:25]
	v_nop
	s_delay_alu instid0(TRANS32_DEP_1) | instskip(NEXT) | instid1(VALU_DEP_1)
	v_fma_f64 v[56:57], -v[24:25], v[30:31], 1.0
	v_fmac_f64_e32 v[30:31], v[30:31], v[56:57]
	s_delay_alu instid0(VALU_DEP_1) | instskip(NEXT) | instid1(VALU_DEP_1)
	v_fma_f64 v[56:57], -v[24:25], v[30:31], 1.0
	v_fmac_f64_e32 v[30:31], v[30:31], v[56:57]
	v_div_scale_f64 v[56:57], vcc_lo, v[22:23], v[44:45], v[22:23]
	s_delay_alu instid0(VALU_DEP_1) | instskip(NEXT) | instid1(VALU_DEP_1)
	v_mul_f64_e32 v[66:67], v[56:57], v[30:31]
	v_fma_f64 v[24:25], -v[24:25], v[66:67], v[56:57]
	v_mov_b64_e32 v[56:57], 0x3e21eeb69037ab78
	s_delay_alu instid0(VALU_DEP_2) | instskip(SKIP_4) | instid1(VALU_DEP_3)
	v_div_fmas_f64 v[24:25], v[24:25], v[30:31], v[66:67]
	scratch_load_b64 v[66:67], off, off offset:16 ; 8-byte Folded Reload
	v_add_f64_e32 v[30:31], v[16:17], v[16:17]
	v_div_fixup_f64 v[22:23], v[24:25], v[44:45], v[22:23]
	v_add_f64_e32 v[24:25], v[8:9], v[116:117]
	v_mul_f64_e32 v[16:17], v[16:17], v[30:31]
	s_delay_alu instid0(VALU_DEP_3) | instskip(NEXT) | instid1(VALU_DEP_3)
	v_fmac_f64_e32 v[22:23], s[8:9], v[2:3]
	v_mul_f64_e32 v[2:3], v[2:3], v[24:25]
	v_add_f64_e32 v[24:25], -1.0, v[114:115]
	s_delay_alu instid0(VALU_DEP_3) | instskip(NEXT) | instid1(VALU_DEP_3)
	v_mul_f64_e64 v[22:23], v[4:5], -v[22:23]
	v_fma_f64 v[12:13], -v[76:77], v[12:13], v[2:3]
	s_delay_alu instid0(VALU_DEP_3) | instskip(NEXT) | instid1(VALU_DEP_3)
	v_mul_f64_e32 v[16:17], v[24:25], v[16:17]
	v_mul_f64_e32 v[114:115], v[54:55], v[22:23]
	s_delay_alu instid0(VALU_DEP_3) | instskip(NEXT) | instid1(VALU_DEP_3)
	v_fma_f64 v[12:13], v[12:13], v[4:5], 1.0
	v_mul_f64_e32 v[16:17], v[16:17], v[20:21]
	s_delay_alu instid0(VALU_DEP_3) | instskip(NEXT) | instid1(VALU_DEP_3)
	v_fmac_f64_e32 v[0:1], 0xbfa17cc48676f310, v[114:115]
	v_mul_f64_e64 v[116:117], v[54:55], -v[12:13]
	s_delay_alu instid0(VALU_DEP_1) | instskip(SKIP_2) | instid1(VALU_DEP_1)
	v_fmac_f64_e32 v[126:127], 0xbfa17cc48676f310, v[116:117]
	s_wait_loadcnt 0x0
	v_fma_f64 v[2:3], -v[66:67], v[24:25], v[2:3]
	v_add_f64_e64 v[2:3], v[2:3], -v[26:27]
	s_delay_alu instid0(VALU_DEP_1) | instskip(SKIP_1) | instid1(VALU_DEP_2)
	v_fma_f64 v[2:3], v[2:3], v[4:5], -v[16:17]
	v_mul_f64_e32 v[16:17], 0.5, v[34:35]
	v_mul_f64_e64 v[118:119], v[54:55], -v[2:3]
	v_and_b32_e32 v2, 1, v10
	s_delay_alu instid0(VALU_DEP_1) | instskip(SKIP_1) | instid1(VALU_DEP_4)
	v_cmp_eq_u32_e32 vcc_lo, 0, v2
	v_mul_f64_e32 v[2:3], v[38:39], v[38:39]
	v_fmac_f64_e32 v[32:33], 0x3ff4bda12f684bda, v[118:119]
	v_fmac_f64_e32 v[124:125], 0xbfa17cc48676f310, v[118:119]
	s_delay_alu instid0(VALU_DEP_3) | instskip(SKIP_3) | instid1(VALU_DEP_3)
	v_mul_f64_e64 v[4:5], v[38:39], -v[2:3]
	v_fmamk_f64 v[12:13], v[2:3], 0x3de5e0b2f9a43bb8, v[70:71]
	v_fmamk_f64 v[22:23], v[2:3], 0xbda907db46cc5e42, v[56:57]
	v_mul_f64_e32 v[20:21], v[2:3], v[2:3]
	v_fmaak_f64 v[12:13], v[2:3], v[12:13], 0x3ec71de3796cde01
	s_delay_alu instid0(VALU_DEP_3) | instskip(NEXT) | instid1(VALU_DEP_2)
	v_fmaak_f64 v[22:23], v[2:3], v[22:23], 0xbe927e4fa17f65f6
	v_fmaak_f64 v[12:13], v[2:3], v[12:13], 0xbf2a01a019e83e5c
	s_delay_alu instid0(VALU_DEP_2) | instskip(NEXT) | instid1(VALU_DEP_2)
	v_fmaak_f64 v[22:23], v[2:3], v[22:23], 0x3efa01a019f4ec90
	v_fmaak_f64 v[12:13], v[2:3], v[12:13], 0x3f81111111110bb3
	s_delay_alu instid0(VALU_DEP_2) | instskip(NEXT) | instid1(VALU_DEP_2)
	v_fmaak_f64 v[22:23], v[2:3], v[22:23], 0xbf56c16c16c16967
	v_fmac_f64_e32 v[16:17], v[4:5], v[12:13]
	s_delay_alu instid0(VALU_DEP_1) | instskip(NEXT) | instid1(VALU_DEP_1)
	v_fma_f64 v[12:13], v[2:3], v[16:17], -v[34:35]
	v_fmac_f64_e32 v[12:13], 0xbfc5555555555555, v[4:5]
	s_delay_alu instid0(VALU_DEP_1) | instskip(SKIP_2) | instid1(VALU_DEP_2)
	v_add_f64_e64 v[4:5], v[38:39], -v[12:13]
	v_mul_f64_e32 v[12:13], 0.5, v[2:3]
	v_fmaak_f64 v[2:3], v[2:3], v[22:23], 0x3fa5555555555555
	v_add_f64_e64 v[16:17], -v[12:13], 1.0
	s_delay_alu instid0(VALU_DEP_1) | instskip(NEXT) | instid1(VALU_DEP_1)
	v_add_f64_e64 v[22:23], -v[16:17], 1.0
	v_add_f64_e64 v[12:13], v[22:23], -v[12:13]
	s_delay_alu instid0(VALU_DEP_1) | instskip(NEXT) | instid1(VALU_DEP_1)
	v_fma_f64 v[12:13], v[38:39], -v[34:35], v[12:13]
	v_fmac_f64_e32 v[12:13], v[20:21], v[2:3]
	s_delay_alu instid0(VALU_DEP_1) | instskip(SKIP_2) | instid1(VALU_DEP_3)
	v_add_f64_e32 v[2:3], v[16:17], v[12:13]
	v_fma_f64 v[16:17], -2.0, v[42:43], v[58:59]
	v_add_f64_e32 v[12:13], v[42:43], v[42:43]
	v_cndmask_b32_e32 v2, v2, v4, vcc_lo
	s_delay_alu instid0(VALU_DEP_3) | instskip(SKIP_1) | instid1(VALU_DEP_1)
	v_add_f64_e32 v[16:17], v[8:9], v[16:17]
	v_dual_cndmask_b32 v3, v3, v5 :: v_dual_lshlrev_b32 v4, 30, v10
	v_dual_cndmask_b32 v2, 0, v2, s0 :: v_dual_bitop2_b32 v4, v4, v107 bitop3:0x14
	s_delay_alu instid0(VALU_DEP_1) | instskip(NEXT) | instid1(VALU_DEP_1)
	v_bitop3_b32 v3, v3, v4, 0x80000000 bitop3:0x78
	v_cndmask_b32_e64 v3, 0x7ff80000, v3, s0
	s_delay_alu instid0(VALU_DEP_1) | instskip(SKIP_4) | instid1(VALU_DEP_4)
	v_mul_f64_e32 v[4:5], v[2:3], v[2:3]
	v_cmp_gt_f64_e64 s0, s[26:27], v[2:3]
	v_mul_f64_e32 v[20:21], v[16:17], v[62:63]
	v_fmac_f64_e32 v[62:63], -2.0, v[42:43]
	v_mul_f64_e64 v[16:17], v[16:17], -v[32:33]
	v_cndmask_b32_e64 v5, v5, 0x3c9cd2b2, s0
	v_cndmask_b32_e64 v4, v4, 0x97d889bc, s0
	;; [unrolled: 1-line block ×4, first 2 shown]
	s_delay_alu instid0(VALU_DEP_1) | instskip(SKIP_2) | instid1(VALU_DEP_2)
	v_mul_f64_e64 v[2:3], -v[2:3], v[48:49]
	v_div_scale_f64 v[22:23], null, v[20:21], v[20:21], 1.0
	v_mul_f64_e32 v[16:17], v[16:17], v[64:65]
	v_rcp_f64_e32 v[24:25], v[22:23]
	v_nop
	s_delay_alu instid0(TRANS32_DEP_1) | instskip(NEXT) | instid1(VALU_DEP_1)
	v_fma_f64 v[30:31], -v[22:23], v[24:25], 1.0
	v_fmac_f64_e32 v[24:25], v[24:25], v[30:31]
	s_delay_alu instid0(VALU_DEP_1) | instskip(NEXT) | instid1(VALU_DEP_1)
	v_fma_f64 v[30:31], -v[22:23], v[24:25], 1.0
	v_fmac_f64_e32 v[24:25], v[24:25], v[30:31]
	v_div_scale_f64 v[30:31], vcc_lo, 1.0, v[20:21], 1.0
	s_delay_alu instid0(VALU_DEP_1) | instskip(NEXT) | instid1(VALU_DEP_1)
	v_mul_f64_e32 v[34:35], v[30:31], v[24:25]
	v_fma_f64 v[22:23], -v[22:23], v[34:35], v[30:31]
	s_delay_alu instid0(VALU_DEP_1) | instskip(SKIP_1) | instid1(VALU_DEP_2)
	v_div_fmas_f64 v[22:23], v[22:23], v[24:25], v[34:35]
	v_mul_f64_e32 v[24:25], v[76:77], v[62:63]
	v_div_fixup_f64 v[20:21], v[22:23], v[20:21], 1.0
	s_delay_alu instid0(VALU_DEP_2) | instskip(SKIP_1) | instid1(VALU_DEP_2)
	v_div_scale_f64 v[30:31], null, v[4:5], v[4:5], v[24:25]
	v_mul_f64_e32 v[22:23], s[8:9], v[12:13]
	v_rcp_f64_e32 v[34:35], v[30:31]
	v_nop
	s_delay_alu instid0(TRANS32_DEP_1) | instskip(NEXT) | instid1(VALU_DEP_1)
	v_fma_f64 v[38:39], -v[30:31], v[34:35], 1.0
	v_fmac_f64_e32 v[34:35], v[34:35], v[38:39]
	s_delay_alu instid0(VALU_DEP_1) | instskip(NEXT) | instid1(VALU_DEP_1)
	v_fma_f64 v[38:39], -v[30:31], v[34:35], 1.0
	v_fmac_f64_e32 v[34:35], v[34:35], v[38:39]
	v_div_scale_f64 v[38:39], vcc_lo, v[24:25], v[4:5], v[24:25]
	s_delay_alu instid0(VALU_DEP_1) | instskip(NEXT) | instid1(VALU_DEP_1)
	v_mul_f64_e32 v[44:45], v[38:39], v[34:35]
	v_fma_f64 v[30:31], -v[30:31], v[44:45], v[38:39]
	s_delay_alu instid0(VALU_DEP_1) | instskip(SKIP_1) | instid1(VALU_DEP_2)
	v_div_fmas_f64 v[30:31], v[30:31], v[34:35], v[44:45]
	v_add_f64_e32 v[34:35], v[32:33], v[32:33]
	v_div_fixup_f64 v[24:25], v[30:31], v[4:5], v[24:25]
	v_add_f64_e32 v[30:31], v[8:9], v[58:59]
	s_delay_alu instid0(VALU_DEP_3) | instskip(SKIP_1) | instid1(VALU_DEP_4)
	v_mul_f64_e32 v[32:33], v[32:33], v[34:35]
	v_mul_f64_e32 v[4:5], v[4:5], v[4:5]
	v_fmac_f64_e32 v[24:25], s[8:9], v[12:13]
	s_delay_alu instid0(VALU_DEP_4) | instskip(SKIP_1) | instid1(VALU_DEP_3)
	v_mul_f64_e32 v[12:13], v[12:13], v[30:31]
	v_add_f64_e32 v[30:31], -1.0, v[42:43]
	v_mul_f64_e32 v[24:25], v[20:21], v[24:25]
	s_delay_alu instid0(VALU_DEP_3) | instskip(NEXT) | instid1(VALU_DEP_3)
	v_fma_f64 v[22:23], -v[76:77], v[22:23], v[12:13]
	v_fma_f64 v[12:13], -v[66:67], v[30:31], v[12:13]
	v_mul_f64_e32 v[30:31], v[30:31], v[32:33]
	s_delay_alu instid0(VALU_DEP_3) | instskip(NEXT) | instid1(VALU_DEP_3)
	v_fma_f64 v[22:23], v[22:23], v[20:21], 1.0
	v_add_f64_e64 v[12:13], v[12:13], -v[26:27]
	s_delay_alu instid0(VALU_DEP_3) | instskip(NEXT) | instid1(VALU_DEP_1)
	v_mul_f64_e32 v[30:31], v[30:31], v[64:65]
	v_fma_f64 v[12:13], v[12:13], v[20:21], -v[30:31]
	v_div_scale_f64 v[20:21], null, v[4:5], v[4:5], v[28:29]
	s_delay_alu instid0(VALU_DEP_2) | instskip(NEXT) | instid1(VALU_DEP_2)
	v_mul_f64_e64 v[12:13], v[54:55], -v[12:13]
	v_rcp_f64_e32 v[30:31], v[20:21]
	s_delay_alu instid0(VALU_DEP_1) | instskip(NEXT) | instid1(TRANS32_DEP_1)
	v_fmac_f64_e32 v[124:125], 0xbf93c92492492492, v[12:13]
	v_fma_f64 v[32:33], -v[20:21], v[30:31], 1.0
	s_delay_alu instid0(VALU_DEP_1) | instskip(NEXT) | instid1(VALU_DEP_1)
	v_fmac_f64_e32 v[30:31], v[30:31], v[32:33]
	v_fma_f64 v[32:33], -v[20:21], v[30:31], 1.0
	s_delay_alu instid0(VALU_DEP_1) | instskip(SKIP_1) | instid1(VALU_DEP_1)
	v_fmac_f64_e32 v[30:31], v[30:31], v[32:33]
	v_div_scale_f64 v[32:33], vcc_lo, v[28:29], v[4:5], v[28:29]
	v_mul_f64_e32 v[34:35], v[32:33], v[30:31]
	s_delay_alu instid0(VALU_DEP_1) | instskip(NEXT) | instid1(VALU_DEP_1)
	v_fma_f64 v[20:21], -v[20:21], v[34:35], v[32:33]
	v_div_fmas_f64 v[20:21], v[20:21], v[30:31], v[34:35]
	v_cmp_class_f64_e64 vcc_lo, v[122:123], 0x1f8
	s_delay_alu instid0(VALU_DEP_2) | instskip(NEXT) | instid1(VALU_DEP_1)
	v_div_fixup_f64 v[4:5], v[20:21], v[4:5], v[28:29]
	v_add_f64_e64 v[4:5], v[4:5], -v[8:9]
	s_delay_alu instid0(VALU_DEP_1) | instskip(SKIP_2) | instid1(VALU_DEP_3)
	v_mul_f64_e32 v[2:3], v[4:5], v[2:3]
	v_mul_f64_e32 v[4:5], v[54:55], v[16:17]
	;; [unrolled: 1-line block ×4, first 2 shown]
	s_delay_alu instid0(VALU_DEP_3) | instskip(NEXT) | instid1(VALU_DEP_3)
	v_fmac_f64_e32 v[46:47], 0xbf93c92492492492, v[4:5]
	v_fmac_f64_e32 v[0:1], 0x3f93c92492492492, v[16:17]
	v_mul_f64_e32 v[16:17], v[54:55], v[22:23]
	v_mul_f64_e32 v[22:23], 0.5, v[6:7]
	v_mov_b64_e32 v[64:65], 0x3e21eeb69037ab78
	v_mul_f64_e32 v[2:3], v[54:55], v[2:3]
	s_delay_alu instid0(VALU_DEP_4)
	v_fmac_f64_e32 v[126:127], 0x3f93c92492492492, v[16:17]
	scratch_load_b64 v[16:17], off, off     ; 8-byte Folded Reload
	v_fmac_f64_e32 v[120:121], 0xbf93c92492492492, v[2:3]
	s_wait_loadcnt 0x0
	v_fmamk_f64 v[34:35], v[78:79], 0x3f9e3425ed097b42, v[16:17]
	v_fmamk_f64 v[16:17], v[82:83], 0x3f9e3425ed097b42, v[74:75]
	scratch_load_b64 v[74:75], off, off offset:48 ; 8-byte Folded Reload
	v_fmac_f64_e32 v[34:35], 0x3fd5e000, v[94:95]
	v_fmac_f64_e32 v[16:17], 0x3fd5e000, v[104:105]
	s_delay_alu instid0(VALU_DEP_2) | instskip(NEXT) | instid1(VALU_DEP_2)
	v_fmac_f64_e32 v[34:35], 0x3fa54bda12f684be, v[86:87]
	v_fmac_f64_e32 v[16:17], 0x3fa54bda12f684be, v[96:97]
	s_delay_alu instid0(VALU_DEP_2) | instskip(NEXT) | instid1(VALU_DEP_2)
	v_fmac_f64_e32 v[34:35], 0x3fd99f425ed097b4, v[98:99]
	v_fmac_f64_e32 v[16:17], 0x3fd99f425ed097b4, v[118:119]
	s_delay_alu instid0(VALU_DEP_2) | instskip(SKIP_1) | instid1(VALU_DEP_3)
	v_fmac_f64_e32 v[34:35], 0x3fafa000, v[2:3]
	v_and_b32_e32 v2, 1, v106
	v_fmac_f64_e32 v[16:17], 0x3fafa000, v[12:13]
	s_delay_alu instid0(VALU_DEP_2) | instskip(SKIP_1) | instid1(VALU_DEP_1)
	v_cmp_eq_u32_e64 s0, 0, v2
	v_mul_f64_e32 v[2:3], v[14:15], v[14:15]
	v_fmamk_f64 v[12:13], v[2:3], 0x3de5e0b2f9a43bb8, v[70:71]
	v_fmamk_f64 v[30:31], v[2:3], 0xbda907db46cc5e42, v[56:57]
	v_mul_f64_e32 v[24:25], v[2:3], v[2:3]
	s_delay_alu instid0(VALU_DEP_3) | instskip(NEXT) | instid1(VALU_DEP_3)
	v_fmaak_f64 v[12:13], v[2:3], v[12:13], 0x3ec71de3796cde01
	v_fmaak_f64 v[30:31], v[2:3], v[30:31], 0xbe927e4fa17f65f6
	s_delay_alu instid0(VALU_DEP_2) | instskip(NEXT) | instid1(VALU_DEP_2)
	v_fmaak_f64 v[12:13], v[2:3], v[12:13], 0xbf2a01a019e83e5c
	v_fmaak_f64 v[30:31], v[2:3], v[30:31], 0x3efa01a019f4ec90
	s_delay_alu instid0(VALU_DEP_2) | instskip(NEXT) | instid1(VALU_DEP_2)
	v_fmaak_f64 v[12:13], v[2:3], v[12:13], 0x3f81111111110bb3
	v_fmaak_f64 v[30:31], v[2:3], v[30:31], 0xbf56c16c16c16967
	s_wait_loadcnt 0x0
	v_fmamk_f64 v[20:21], v[80:81], 0x3f9e3425ed097b42, v[74:75]
	s_delay_alu instid0(VALU_DEP_1) | instskip(NEXT) | instid1(VALU_DEP_1)
	v_fmac_f64_e32 v[20:21], 0x3fd5e000, v[92:93]
	v_fmac_f64_e32 v[20:21], 0x3fa54bda12f684be, v[88:89]
	s_delay_alu instid0(VALU_DEP_1) | instskip(NEXT) | instid1(VALU_DEP_1)
	v_fmac_f64_e32 v[20:21], 0x3fd99f425ed097b4, v[100:101]
	v_fmac_f64_e32 v[20:21], 0x3fafa000, v[4:5]
	v_mul_f64_e64 v[4:5], v[14:15], -v[2:3]
	s_delay_alu instid0(VALU_DEP_1) | instskip(NEXT) | instid1(VALU_DEP_1)
	v_fmac_f64_e32 v[22:23], v[4:5], v[12:13]
	v_fma_f64 v[12:13], v[2:3], v[22:23], -v[6:7]
	s_delay_alu instid0(VALU_DEP_1) | instskip(NEXT) | instid1(VALU_DEP_1)
	v_fmac_f64_e32 v[12:13], 0xbfc5555555555555, v[4:5]
	v_add_f64_e64 v[4:5], v[14:15], -v[12:13]
	v_mul_f64_e32 v[12:13], 0.5, v[2:3]
	v_fmaak_f64 v[2:3], v[2:3], v[30:31], 0x3fa5555555555555
	s_delay_alu instid0(VALU_DEP_2) | instskip(NEXT) | instid1(VALU_DEP_1)
	v_add_f64_e64 v[22:23], -v[12:13], 1.0
	v_add_f64_e64 v[30:31], -v[22:23], 1.0
	s_delay_alu instid0(VALU_DEP_1) | instskip(NEXT) | instid1(VALU_DEP_1)
	v_add_f64_e64 v[12:13], v[30:31], -v[12:13]
	v_fma_f64 v[6:7], v[14:15], -v[6:7], v[12:13]
	s_delay_alu instid0(VALU_DEP_1) | instskip(NEXT) | instid1(VALU_DEP_1)
	v_fmac_f64_e32 v[6:7], v[24:25], v[2:3]
	v_add_f64_e32 v[2:3], v[22:23], v[6:7]
	s_delay_alu instid0(VALU_DEP_1) | instskip(NEXT) | instid1(VALU_DEP_1)
	v_dual_cndmask_b32 v2, v2, v4, s0 :: v_dual_lshlrev_b32 v4, 30, v106
	v_dual_cndmask_b32 v3, v3, v5, s0 :: v_dual_cndmask_b32 v6, 0, v2, vcc_lo
	s_delay_alu instid0(VALU_DEP_2) | instskip(NEXT) | instid1(VALU_DEP_1)
	v_xor_b32_e32 v4, v4, v123
	v_bitop3_b32 v3, v3, v4, 0x80000000 bitop3:0x78
	s_delay_alu instid0(VALU_DEP_1) | instskip(SKIP_1) | instid1(VALU_DEP_1)
	v_cndmask_b32_e32 v7, 0x7ff80000, v3, vcc_lo
	v_mul_f64_e32 v[2:3], v[18:19], v[18:19]
	v_mul_f64_e32 v[4:5], 0.5, v[2:3]
	v_fmamk_f64 v[22:23], v[2:3], 0xbda907db46cc5e42, v[56:57]
	v_mul_f64_e64 v[32:33], v[18:19], -v[2:3]
	s_delay_alu instid0(VALU_DEP_2) | instskip(NEXT) | instid1(VALU_DEP_1)
	v_fmaak_f64 v[22:23], v[2:3], v[22:23], 0xbe927e4fa17f65f6
	v_fmaak_f64 v[22:23], v[2:3], v[22:23], 0x3efa01a019f4ec90
	s_delay_alu instid0(VALU_DEP_1) | instskip(NEXT) | instid1(VALU_DEP_1)
	v_fmaak_f64 v[22:23], v[2:3], v[22:23], 0xbf56c16c16c16967
	v_fmaak_f64 v[22:23], v[2:3], v[22:23], 0x3fa5555555555555
	v_add_f64_e64 v[12:13], -v[4:5], 1.0
	s_delay_alu instid0(VALU_DEP_1) | instskip(NEXT) | instid1(VALU_DEP_1)
	v_add_f64_e64 v[14:15], -v[12:13], 1.0
	v_add_f64_e64 v[4:5], v[14:15], -v[4:5]
	v_mul_f64_e32 v[14:15], v[2:3], v[2:3]
	s_delay_alu instid0(VALU_DEP_2) | instskip(NEXT) | instid1(VALU_DEP_1)
	v_fma_f64 v[4:5], v[18:19], -v[60:61], v[4:5]
	v_fmac_f64_e32 v[4:5], v[14:15], v[22:23]
	s_delay_alu instid0(VALU_DEP_1) | instskip(SKIP_2) | instid1(VALU_DEP_1)
	v_add_f64_e32 v[14:15], v[12:13], v[4:5]
	v_mul_f64_e32 v[12:13], 0.5, v[60:61]
	v_fmamk_f64 v[4:5], v[2:3], 0x3de5e0b2f9a43bb8, v[70:71]
	v_fmaak_f64 v[4:5], v[2:3], v[4:5], 0x3ec71de3796cde01
	s_delay_alu instid0(VALU_DEP_1) | instskip(NEXT) | instid1(VALU_DEP_1)
	v_fmaak_f64 v[4:5], v[2:3], v[4:5], 0xbf2a01a019e83e5c
	v_fmaak_f64 v[4:5], v[2:3], v[4:5], 0x3f81111111110bb3
	s_delay_alu instid0(VALU_DEP_1) | instskip(SKIP_1) | instid1(VALU_DEP_1)
	v_fmac_f64_e32 v[12:13], v[32:33], v[4:5]
	v_and_b32_e32 v4, 1, v11
	v_cmp_eq_u32_e64 s0, 0, v4
	s_delay_alu instid0(VALU_DEP_3) | instskip(NEXT) | instid1(VALU_DEP_1)
	v_dual_fma_f64 v[38:39], v[2:3], v[12:13], -v[60:61] :: v_dual_lshlrev_b32 v4, 30, v11
	v_fmac_f64_e32 v[38:39], 0xbfc5555555555555, v[32:33]
	s_delay_alu instid0(VALU_DEP_1) | instskip(NEXT) | instid1(VALU_DEP_1)
	v_add_f64_e64 v[2:3], v[18:19], -v[38:39]
	v_xor_b32_e32 v3, 0x80000000, v3
	s_delay_alu instid0(VALU_DEP_1) | instskip(NEXT) | instid1(VALU_DEP_1)
	v_dual_cndmask_b32 v2, v2, v14, s0 :: v_dual_cndmask_b32 v3, v3, v15, s0
	v_cndmask_b32_e32 v44, 0, v2, vcc_lo
	v_cmp_gt_f64_e64 s0, s[26:27], v[6:7]
	s_delay_alu instid0(VALU_DEP_3) | instskip(SKIP_1) | instid1(VALU_DEP_2)
	v_bitop3_b32 v3, v3, v4, 0x80000000 bitop3:0x78
	v_add_f64_e32 v[4:5], v[20:21], v[20:21]
	v_cndmask_b32_e32 v45, 0x7ff80000, v3, vcc_lo
	v_mul_f64_e32 v[2:3], v[6:7], v[6:7]
	s_delay_alu instid0(VALU_DEP_3) | instskip(NEXT) | instid1(VALU_DEP_2)
	v_fma_f64 v[10:11], v[20:21], v[20:21], -v[4:5]
	v_cndmask_b32_e64 v43, v3, 0x3c9cd2b2, s0
	s_delay_alu instid0(VALU_DEP_3) | instskip(SKIP_1) | instid1(VALU_DEP_4)
	v_cndmask_b32_e64 v42, v2, 0x97d889bc, s0
	v_mul_f64_e32 v[2:3], v[44:45], v[44:45]
	v_add_f64_e32 v[10:11], v[8:9], v[10:11]
	s_delay_alu instid0(VALU_DEP_2) | instskip(NEXT) | instid1(VALU_DEP_1)
	v_mul_f64_e32 v[2:3], v[8:9], v[2:3]
	v_fmac_f64_e32 v[2:3], v[20:21], v[20:21]
	s_delay_alu instid0(VALU_DEP_1) | instskip(SKIP_1) | instid1(VALU_DEP_2)
	v_mul_f64_e32 v[12:13], v[10:11], v[2:3]
	v_mul_f64_e64 v[10:11], v[10:11], -v[16:17]
	v_div_scale_f64 v[14:15], null, v[12:13], v[12:13], 1.0
	s_delay_alu instid0(VALU_DEP_1) | instskip(SKIP_1) | instid1(TRANS32_DEP_1)
	v_rcp_f64_e32 v[18:19], v[14:15]
	v_nop
	v_fma_f64 v[22:23], -v[14:15], v[18:19], 1.0
	s_delay_alu instid0(VALU_DEP_1) | instskip(NEXT) | instid1(VALU_DEP_1)
	v_fmac_f64_e32 v[18:19], v[18:19], v[22:23]
	v_fma_f64 v[22:23], -v[14:15], v[18:19], 1.0
	s_delay_alu instid0(VALU_DEP_1) | instskip(SKIP_1) | instid1(VALU_DEP_1)
	v_fmac_f64_e32 v[18:19], v[18:19], v[22:23]
	v_div_scale_f64 v[22:23], vcc_lo, 1.0, v[12:13], 1.0
	v_mul_f64_e32 v[24:25], v[22:23], v[18:19]
	s_delay_alu instid0(VALU_DEP_1) | instskip(NEXT) | instid1(VALU_DEP_1)
	v_fma_f64 v[14:15], -v[14:15], v[24:25], v[22:23]
	v_div_fmas_f64 v[14:15], v[14:15], v[18:19], v[24:25]
	s_delay_alu instid0(VALU_DEP_1) | instskip(SKIP_1) | instid1(VALU_DEP_1)
	v_div_fixup_f64 v[12:13], v[14:15], v[12:13], 1.0
	v_div_scale_f64 v[14:15], null, v[2:3], v[2:3], 1.0
	v_rcp_f64_e32 v[18:19], v[14:15]
	v_nop
	s_delay_alu instid0(TRANS32_DEP_1) | instskip(NEXT) | instid1(VALU_DEP_1)
	v_fma_f64 v[22:23], -v[14:15], v[18:19], 1.0
	v_fmac_f64_e32 v[18:19], v[18:19], v[22:23]
	s_delay_alu instid0(VALU_DEP_1) | instskip(NEXT) | instid1(VALU_DEP_1)
	v_fma_f64 v[22:23], -v[14:15], v[18:19], 1.0
	v_fmac_f64_e32 v[18:19], v[18:19], v[22:23]
	v_div_scale_f64 v[22:23], vcc_lo, 1.0, v[2:3], 1.0
	s_delay_alu instid0(VALU_DEP_1) | instskip(NEXT) | instid1(VALU_DEP_1)
	v_mul_f64_e32 v[24:25], v[22:23], v[18:19]
	v_fma_f64 v[14:15], -v[14:15], v[24:25], v[22:23]
	s_delay_alu instid0(VALU_DEP_1) | instskip(NEXT) | instid1(VALU_DEP_1)
	v_div_fmas_f64 v[14:15], v[14:15], v[18:19], v[24:25]
	v_div_fixup_f64 v[48:49], v[14:15], v[2:3], 1.0
	v_fmac_f64_e32 v[2:3], -2.0, v[20:21]
	s_delay_alu instid0(VALU_DEP_2) | instskip(NEXT) | instid1(VALU_DEP_2)
	v_mul_f64_e32 v[38:39], v[10:11], v[48:49]
	v_mul_f64_e32 v[2:3], v[76:77], v[2:3]
	;; [unrolled: 1-line block ×3, first 2 shown]
	v_mul_f64_e64 v[14:15], v[48:49], -v[34:35]
	s_delay_alu instid0(VALU_DEP_4) | instskip(NEXT) | instid1(VALU_DEP_4)
	v_mul_f64_e32 v[34:35], v[54:55], v[38:39]
	v_div_scale_f64 v[18:19], null, v[42:43], v[42:43], v[2:3]
	s_delay_alu instid0(VALU_DEP_2) | instskip(NEXT) | instid1(VALU_DEP_2)
	v_fmac_f64_e32 v[46:47], 0x3fa405342ed5a580, v[34:35]
	v_rcp_f64_e32 v[22:23], v[18:19]
	v_nop
	s_delay_alu instid0(TRANS32_DEP_1) | instskip(NEXT) | instid1(VALU_DEP_1)
	v_fma_f64 v[24:25], -v[18:19], v[22:23], 1.0
	v_fmac_f64_e32 v[22:23], v[22:23], v[24:25]
	s_delay_alu instid0(VALU_DEP_1) | instskip(NEXT) | instid1(VALU_DEP_1)
	v_fma_f64 v[24:25], -v[18:19], v[22:23], 1.0
	v_fmac_f64_e32 v[22:23], v[22:23], v[24:25]
	v_div_scale_f64 v[24:25], vcc_lo, v[2:3], v[42:43], v[2:3]
	s_delay_alu instid0(VALU_DEP_1) | instskip(NEXT) | instid1(VALU_DEP_1)
	v_mul_f64_e32 v[30:31], v[24:25], v[22:23]
	v_fma_f64 v[18:19], -v[18:19], v[30:31], v[24:25]
	scratch_load_b64 v[24:25], off, off offset:112 ; 8-byte Folded Reload
	v_div_fmas_f64 v[18:19], v[18:19], v[22:23], v[30:31]
	scratch_load_b64 v[22:23], off, off offset:96 ; 8-byte Folded Reload
	v_div_fixup_f64 v[2:3], v[18:19], v[42:43], v[2:3]
	s_delay_alu instid0(VALU_DEP_1) | instskip(NEXT) | instid1(VALU_DEP_1)
	v_fmac_f64_e32 v[2:3], s[8:9], v[4:5]
	v_mul_f64_e64 v[18:19], v[12:13], -v[2:3]
	v_fma_f64 v[2:3], v[20:21], v[20:21], v[8:9]
	s_delay_alu instid0(VALU_DEP_1) | instskip(NEXT) | instid1(VALU_DEP_1)
	v_mul_f64_e32 v[2:3], v[4:5], v[2:3]
	v_fma_f64 v[4:5], -v[76:77], v[10:11], v[2:3]
	v_add_f64_e32 v[10:11], v[16:17], v[16:17]
	s_delay_alu instid0(VALU_DEP_2) | instskip(SKIP_1) | instid1(VALU_DEP_3)
	v_fma_f64 v[32:33], v[4:5], v[12:13], 1.0
	v_add_f64_e32 v[4:5], -1.0, v[20:21]
	v_mul_f64_e32 v[10:11], v[16:17], v[10:11]
	s_delay_alu instid0(VALU_DEP_2) | instskip(NEXT) | instid1(VALU_DEP_2)
	v_fma_f64 v[2:3], -v[66:67], v[4:5], v[2:3]
	v_mul_f64_e32 v[4:5], v[4:5], v[10:11]
	s_delay_alu instid0(VALU_DEP_2) | instskip(NEXT) | instid1(VALU_DEP_2)
	v_add_f64_e64 v[2:3], v[2:3], -v[26:27]
	v_mul_f64_e32 v[4:5], v[4:5], v[48:49]
	s_delay_alu instid0(VALU_DEP_1) | instskip(SKIP_4) | instid1(VALU_DEP_1)
	v_fma_f64 v[20:21], v[2:3], v[12:13], -v[4:5]
	v_mul_f64_e32 v[4:5], v[42:43], v[42:43]
	v_cndmask_b32_e64 v3, v7, 0x3e45798e, s0
	v_cndmask_b32_e64 v2, v6, 0xe2308c3a, s0
	s_mov_b32 s0, exec_lo
	v_mul_f64_e64 v[2:3], -v[2:3], v[44:45]
	s_delay_alu instid0(VALU_DEP_4) | instskip(NEXT) | instid1(VALU_DEP_1)
	v_div_scale_f64 v[6:7], null, v[4:5], v[4:5], v[28:29]
	v_rcp_f64_e32 v[10:11], v[6:7]
	v_nop
	s_delay_alu instid0(TRANS32_DEP_1) | instskip(NEXT) | instid1(VALU_DEP_1)
	v_fma_f64 v[12:13], -v[6:7], v[10:11], 1.0
	v_fmac_f64_e32 v[10:11], v[10:11], v[12:13]
	s_delay_alu instid0(VALU_DEP_1) | instskip(NEXT) | instid1(VALU_DEP_1)
	v_fma_f64 v[12:13], -v[6:7], v[10:11], 1.0
	v_fmac_f64_e32 v[10:11], v[10:11], v[12:13]
	v_div_scale_f64 v[12:13], vcc_lo, v[28:29], v[4:5], v[28:29]
	s_delay_alu instid0(VALU_DEP_1) | instskip(NEXT) | instid1(VALU_DEP_1)
	v_mul_f64_e32 v[16:17], v[12:13], v[10:11]
	v_fma_f64 v[6:7], -v[6:7], v[16:17], v[12:13]
	s_delay_alu instid0(VALU_DEP_1) | instskip(SKIP_1) | instid1(VALU_DEP_2)
	v_div_fmas_f64 v[6:7], v[6:7], v[10:11], v[16:17]
	v_mul_f64_e64 v[16:17], v[54:55], -v[32:33]
	v_div_fixup_f64 v[4:5], v[6:7], v[4:5], v[28:29]
	v_mul_f64_e32 v[6:7], v[54:55], v[14:15]
	v_mul_f64_e32 v[14:15], v[54:55], v[18:19]
	s_delay_alu instid0(VALU_DEP_4) | instskip(SKIP_4) | instid1(VALU_DEP_4)
	v_fmac_f64_e32 v[126:127], 0x3fa405342ed5a580, v[16:17]
	v_mul_f64_e64 v[18:19], v[54:55], -v[20:21]
	v_add_f64_e64 v[4:5], v[4:5], -v[8:9]
	v_fmac_f64_e32 v[36:37], 0x3fa405342ed5a580, v[6:7]
	v_fmac_f64_e32 v[0:1], 0x3fa405342ed5a580, v[14:15]
	;; [unrolled: 1-line block ×3, first 2 shown]
	s_delay_alu instid0(VALU_DEP_4) | instskip(NEXT) | instid1(VALU_DEP_1)
	v_mul_f64_e32 v[2:3], v[4:5], v[2:3]
	v_mul_f64_e32 v[42:43], v[2:3], v[48:49]
	s_wait_loadcnt 0x0
	v_div_scale_f64 v[2:3], null, v[22:23], v[22:23], v[46:47]
	s_delay_alu instid0(VALU_DEP_2) | instskip(NEXT) | instid1(VALU_DEP_2)
	v_mul_f64_e32 v[20:21], v[54:55], v[42:43]
	v_rcp_f64_e32 v[4:5], v[2:3]
	s_delay_alu instid0(VALU_DEP_1) | instskip(NEXT) | instid1(TRANS32_DEP_1)
	v_fmac_f64_e32 v[120:121], 0x3fa405342ed5a580, v[20:21]
	v_fma_f64 v[10:11], -v[2:3], v[4:5], 1.0
	s_delay_alu instid0(VALU_DEP_1) | instskip(NEXT) | instid1(VALU_DEP_1)
	v_fmac_f64_e32 v[4:5], v[4:5], v[10:11]
	v_fma_f64 v[10:11], -v[2:3], v[4:5], 1.0
	s_delay_alu instid0(VALU_DEP_1) | instskip(SKIP_1) | instid1(VALU_DEP_1)
	v_fmac_f64_e32 v[4:5], v[4:5], v[10:11]
	v_div_scale_f64 v[10:11], vcc_lo, v[46:47], v[22:23], v[46:47]
	v_mul_f64_e32 v[12:13], v[10:11], v[4:5]
	s_delay_alu instid0(VALU_DEP_1) | instskip(NEXT) | instid1(VALU_DEP_1)
	v_fma_f64 v[2:3], -v[2:3], v[12:13], v[10:11]
	v_div_fmas_f64 v[2:3], v[2:3], v[4:5], v[12:13]
	s_delay_alu instid0(VALU_DEP_1) | instskip(SKIP_4) | instid1(VALU_DEP_1)
	v_div_fixup_f64 v[2:3], v[2:3], v[22:23], v[46:47]
	scratch_load_b64 v[22:23], off, off offset:104 ; 8-byte Folded Reload
	v_max_num_f64_e64 v[32:33], |v[2:3]|, 0
	s_wait_loadcnt 0x0
	v_div_scale_f64 v[2:3], null, v[22:23], v[22:23], v[36:37]
	v_rcp_f64_e32 v[4:5], v[2:3]
	v_nop
	s_delay_alu instid0(TRANS32_DEP_1) | instskip(NEXT) | instid1(VALU_DEP_1)
	v_fma_f64 v[10:11], -v[2:3], v[4:5], 1.0
	v_fmac_f64_e32 v[4:5], v[4:5], v[10:11]
	s_delay_alu instid0(VALU_DEP_1) | instskip(NEXT) | instid1(VALU_DEP_1)
	v_fma_f64 v[10:11], -v[2:3], v[4:5], 1.0
	v_fmac_f64_e32 v[4:5], v[4:5], v[10:11]
	v_div_scale_f64 v[10:11], vcc_lo, v[36:37], v[22:23], v[36:37]
	s_delay_alu instid0(VALU_DEP_1) | instskip(NEXT) | instid1(VALU_DEP_1)
	v_mul_f64_e32 v[12:13], v[10:11], v[4:5]
	v_fma_f64 v[2:3], -v[2:3], v[12:13], v[10:11]
	s_delay_alu instid0(VALU_DEP_1) | instskip(NEXT) | instid1(VALU_DEP_1)
	v_div_fmas_f64 v[2:3], v[2:3], v[4:5], v[12:13]
	v_div_fixup_f64 v[2:3], v[2:3], v[22:23], v[36:37]
	s_delay_alu instid0(VALU_DEP_1) | instskip(SKIP_1) | instid1(VALU_DEP_1)
	v_cmp_gt_f64_e64 vcc_lo, |v[2:3]|, v[32:33]
	v_and_b32_e32 v4, 0x7fffffff, v3
	v_cndmask_b32_e32 v3, v33, v4, vcc_lo
	v_div_scale_f64 v[4:5], null, v[24:25], v[24:25], v[0:1]
	v_cndmask_b32_e32 v2, v32, v2, vcc_lo
	s_delay_alu instid0(VALU_DEP_2) | instskip(SKIP_1) | instid1(TRANS32_DEP_1)
	v_rcp_f64_e32 v[10:11], v[4:5]
	v_nop
	v_fma_f64 v[12:13], -v[4:5], v[10:11], 1.0
	s_delay_alu instid0(VALU_DEP_1) | instskip(NEXT) | instid1(VALU_DEP_1)
	v_fmac_f64_e32 v[10:11], v[10:11], v[12:13]
	v_fma_f64 v[12:13], -v[4:5], v[10:11], 1.0
	s_delay_alu instid0(VALU_DEP_1) | instskip(SKIP_1) | instid1(VALU_DEP_1)
	v_fmac_f64_e32 v[10:11], v[10:11], v[12:13]
	v_div_scale_f64 v[12:13], vcc_lo, v[0:1], v[24:25], v[0:1]
	v_mul_f64_e32 v[22:23], v[12:13], v[10:11]
	s_delay_alu instid0(VALU_DEP_1) | instskip(NEXT) | instid1(VALU_DEP_1)
	v_fma_f64 v[4:5], -v[4:5], v[22:23], v[12:13]
	v_div_fmas_f64 v[4:5], v[4:5], v[10:11], v[22:23]
	scratch_load_b64 v[22:23], off, off offset:120 ; 8-byte Folded Reload
	v_div_fixup_f64 v[0:1], v[4:5], v[24:25], v[0:1]
	s_delay_alu instid0(VALU_DEP_1) | instskip(SKIP_1) | instid1(VALU_DEP_1)
	v_cmp_gt_f64_e64 vcc_lo, |v[0:1]|, v[2:3]
	v_and_b32_e32 v4, 0x7fffffff, v1
	v_cndmask_b32_e32 v1, v3, v4, vcc_lo
	v_cndmask_b32_e32 v0, v2, v0, vcc_lo
	s_wait_loadcnt 0x0
	v_div_scale_f64 v[2:3], null, v[22:23], v[22:23], v[126:127]
	s_delay_alu instid0(VALU_DEP_1) | instskip(SKIP_1) | instid1(TRANS32_DEP_1)
	v_rcp_f64_e32 v[4:5], v[2:3]
	v_nop
	v_fma_f64 v[10:11], -v[2:3], v[4:5], 1.0
	s_delay_alu instid0(VALU_DEP_1) | instskip(NEXT) | instid1(VALU_DEP_1)
	v_fmac_f64_e32 v[4:5], v[4:5], v[10:11]
	v_fma_f64 v[10:11], -v[2:3], v[4:5], 1.0
	s_delay_alu instid0(VALU_DEP_1) | instskip(SKIP_1) | instid1(VALU_DEP_1)
	v_fmac_f64_e32 v[4:5], v[4:5], v[10:11]
	v_div_scale_f64 v[10:11], vcc_lo, v[126:127], v[22:23], v[126:127]
	v_mul_f64_e32 v[12:13], v[10:11], v[4:5]
	s_delay_alu instid0(VALU_DEP_1) | instskip(NEXT) | instid1(VALU_DEP_1)
	v_fma_f64 v[2:3], -v[2:3], v[12:13], v[10:11]
	v_div_fmas_f64 v[2:3], v[2:3], v[4:5], v[12:13]
	s_delay_alu instid0(VALU_DEP_1) | instskip(SKIP_3) | instid1(VALU_DEP_1)
	v_div_fixup_f64 v[2:3], v[2:3], v[22:23], v[126:127]
	scratch_load_b64 v[22:23], off, off offset:128 ; 8-byte Folded Reload
	v_cmp_gt_f64_e64 vcc_lo, |v[2:3]|, v[0:1]
	v_and_b32_e32 v4, 0x7fffffff, v3
	v_dual_cndmask_b32 v0, v0, v2 :: v_dual_cndmask_b32 v1, v1, v4
	s_wait_loadcnt 0x0
	v_div_scale_f64 v[2:3], null, v[22:23], v[22:23], v[124:125]
	s_delay_alu instid0(VALU_DEP_1) | instskip(SKIP_1) | instid1(TRANS32_DEP_1)
	v_rcp_f64_e32 v[4:5], v[2:3]
	v_nop
	v_fma_f64 v[10:11], -v[2:3], v[4:5], 1.0
	s_delay_alu instid0(VALU_DEP_1) | instskip(NEXT) | instid1(VALU_DEP_1)
	v_fmac_f64_e32 v[4:5], v[4:5], v[10:11]
	v_fma_f64 v[10:11], -v[2:3], v[4:5], 1.0
	s_delay_alu instid0(VALU_DEP_1) | instskip(SKIP_1) | instid1(VALU_DEP_1)
	v_fmac_f64_e32 v[4:5], v[4:5], v[10:11]
	v_div_scale_f64 v[10:11], vcc_lo, v[124:125], v[22:23], v[124:125]
	v_mul_f64_e32 v[12:13], v[10:11], v[4:5]
	s_delay_alu instid0(VALU_DEP_1) | instskip(SKIP_2) | instid1(VALU_DEP_1)
	v_fma_f64 v[2:3], -v[2:3], v[12:13], v[10:11]
	scratch_load_b64 v[10:11], off, off offset:136 ; 8-byte Folded Reload
	v_div_fmas_f64 v[2:3], v[2:3], v[4:5], v[12:13]
	v_div_fixup_f64 v[2:3], v[2:3], v[22:23], v[124:125]
	s_delay_alu instid0(VALU_DEP_1) | instskip(SKIP_1) | instid1(VALU_DEP_1)
	v_cmp_gt_f64_e64 vcc_lo, |v[2:3]|, v[0:1]
	v_and_b32_e32 v4, 0x7fffffff, v3
	v_dual_cndmask_b32 v0, v0, v2 :: v_dual_cndmask_b32 v1, v1, v4
	s_wait_loadcnt 0x0
	v_div_scale_f64 v[36:37], null, v[10:11], v[10:11], v[120:121]
	s_delay_alu instid0(VALU_DEP_1) | instskip(SKIP_1) | instid1(TRANS32_DEP_1)
	v_rcp_f64_e32 v[32:33], v[36:37]
	v_nop
	v_fma_f64 v[2:3], -v[36:37], v[32:33], 1.0
	s_delay_alu instid0(VALU_DEP_1) | instskip(NEXT) | instid1(VALU_DEP_1)
	v_fmac_f64_e32 v[32:33], v[32:33], v[2:3]
	v_fma_f64 v[2:3], -v[36:37], v[32:33], 1.0
	s_delay_alu instid0(VALU_DEP_1) | instskip(SKIP_1) | instid1(VALU_DEP_1)
	v_fmac_f64_e32 v[32:33], v[32:33], v[2:3]
	v_div_scale_f64 v[2:3], vcc_lo, v[120:121], v[10:11], v[120:121]
	v_mul_f64_e32 v[4:5], v[2:3], v[32:33]
	s_delay_alu instid0(VALU_DEP_1) | instskip(NEXT) | instid1(VALU_DEP_1)
	v_fma_f64 v[2:3], -v[36:37], v[4:5], v[2:3]
	v_div_fmas_f64 v[2:3], v[2:3], v[32:33], v[4:5]
                                        ; implicit-def: $vgpr32_vgpr33
	s_delay_alu instid0(VALU_DEP_1) | instskip(NEXT) | instid1(VALU_DEP_1)
	v_div_fixup_f64 v[2:3], v[2:3], v[10:11], v[120:121]
	v_cmp_gt_f64_e64 vcc_lo, |v[2:3]|, v[0:1]
	v_and_b32_e32 v4, 0x7fffffff, v3
	s_delay_alu instid0(VALU_DEP_1) | instskip(NEXT) | instid1(VALU_DEP_1)
	v_dual_cndmask_b32 v1, v1, v4 :: v_dual_cndmask_b32 v0, v0, v2
	v_mul_f64_e32 v[0:1], 0x42d6bcc41e900000, v[0:1]
	s_wait_xcnt 0x0
	s_delay_alu instid0(VALU_DEP_1)
	v_cmpx_nge_f64_e32 1.0, v[0:1]
	s_cbranch_execz .LBB1_92
; %bb.134:                              ;   in Loop: Header=BB1_93 Depth=3
	v_cmp_gt_f64_e32 vcc_lo, 0x10000000, v[0:1]
	v_mul_f64_e32 v[32:33], 0x3fb999999999999a, v[54:55]
	s_mov_b32 s2, exec_lo
	v_cndmask_b32_e64 v2, 0, 0x100, vcc_lo
	s_delay_alu instid0(VALU_DEP_1) | instskip(NEXT) | instid1(VALU_DEP_1)
	v_ldexp_f64 v[2:3], v[0:1], v2
	v_rsq_f64_e32 v[4:5], v[2:3]
	v_nop
	s_delay_alu instid0(TRANS32_DEP_1) | instskip(SKIP_1) | instid1(VALU_DEP_1)
	v_mul_f64_e32 v[10:11], v[2:3], v[4:5]
	v_mul_f64_e32 v[4:5], 0.5, v[4:5]
	v_fma_f64 v[12:13], -v[4:5], v[10:11], 0.5
	s_delay_alu instid0(VALU_DEP_1) | instskip(SKIP_1) | instid1(VALU_DEP_2)
	v_fmac_f64_e32 v[10:11], v[10:11], v[12:13]
	v_fmac_f64_e32 v[4:5], v[4:5], v[12:13]
	v_fma_f64 v[12:13], -v[10:11], v[10:11], v[2:3]
	s_delay_alu instid0(VALU_DEP_1) | instskip(NEXT) | instid1(VALU_DEP_1)
	v_fmac_f64_e32 v[10:11], v[12:13], v[4:5]
	v_fma_f64 v[12:13], -v[10:11], v[10:11], v[2:3]
	s_delay_alu instid0(VALU_DEP_1) | instskip(SKIP_2) | instid1(VALU_DEP_2)
	v_fmac_f64_e32 v[10:11], v[12:13], v[4:5]
	v_cndmask_b32_e64 v4, 0, 0xffffff80, vcc_lo
	v_cmp_class_f64_e64 vcc_lo, v[2:3], 0x260
	v_ldexp_f64 v[4:5], v[10:11], v4
	s_delay_alu instid0(VALU_DEP_1) | instskip(NEXT) | instid1(VALU_DEP_1)
	v_dual_cndmask_b32 v3, v5, v3 :: v_dual_cndmask_b32 v2, v4, v2
	v_cmp_gt_f64_e32 vcc_lo, 0x10000000, v[2:3]
	s_delay_alu instid0(VALU_DEP_4) | instskip(NEXT) | instid1(VALU_DEP_1)
	v_cndmask_b32_e64 v4, 0, 0x100, vcc_lo
	v_ldexp_f64 v[2:3], v[2:3], v4
	s_delay_alu instid0(VALU_DEP_1) | instskip(SKIP_1) | instid1(TRANS32_DEP_1)
	v_rsq_f64_e32 v[4:5], v[2:3]
	v_nop
	v_mul_f64_e32 v[10:11], v[2:3], v[4:5]
	v_mul_f64_e32 v[4:5], 0.5, v[4:5]
	s_delay_alu instid0(VALU_DEP_1) | instskip(NEXT) | instid1(VALU_DEP_1)
	v_fma_f64 v[12:13], -v[4:5], v[10:11], 0.5
	v_fmac_f64_e32 v[10:11], v[10:11], v[12:13]
	v_fmac_f64_e32 v[4:5], v[4:5], v[12:13]
	s_delay_alu instid0(VALU_DEP_2) | instskip(NEXT) | instid1(VALU_DEP_1)
	v_fma_f64 v[12:13], -v[10:11], v[10:11], v[2:3]
	v_fmac_f64_e32 v[10:11], v[12:13], v[4:5]
	s_delay_alu instid0(VALU_DEP_1) | instskip(NEXT) | instid1(VALU_DEP_1)
	v_fma_f64 v[12:13], -v[10:11], v[10:11], v[2:3]
	v_fmac_f64_e32 v[10:11], v[12:13], v[4:5]
	v_cndmask_b32_e64 v4, 0, 0xffffff80, vcc_lo
	v_cmp_class_f64_e64 vcc_lo, v[2:3], 0x260
	s_delay_alu instid0(VALU_DEP_2) | instskip(SKIP_1) | instid1(VALU_DEP_2)
	v_ldexp_f64 v[4:5], v[10:11], v4
	v_mul_f64_e32 v[10:11], 0x3feccccccccccccd, v[54:55]
	v_dual_cndmask_b32 v3, v5, v3 :: v_dual_cndmask_b32 v2, v4, v2
	s_delay_alu instid0(VALU_DEP_1) | instskip(SKIP_1) | instid1(VALU_DEP_2)
	v_div_scale_f64 v[4:5], null, v[2:3], v[2:3], v[10:11]
	v_div_scale_f64 v[24:25], vcc_lo, v[10:11], v[2:3], v[10:11]
	v_rcp_f64_e32 v[12:13], v[4:5]
	v_nop
	s_delay_alu instid0(TRANS32_DEP_1) | instskip(NEXT) | instid1(VALU_DEP_1)
	v_fma_f64 v[22:23], -v[4:5], v[12:13], 1.0
	v_fmac_f64_e32 v[12:13], v[12:13], v[22:23]
	s_delay_alu instid0(VALU_DEP_1) | instskip(NEXT) | instid1(VALU_DEP_1)
	v_fma_f64 v[22:23], -v[4:5], v[12:13], 1.0
	v_fmac_f64_e32 v[12:13], v[12:13], v[22:23]
	s_delay_alu instid0(VALU_DEP_1) | instskip(NEXT) | instid1(VALU_DEP_1)
	v_mul_f64_e32 v[22:23], v[24:25], v[12:13]
	v_fma_f64 v[4:5], -v[4:5], v[22:23], v[24:25]
	s_delay_alu instid0(VALU_DEP_1) | instskip(NEXT) | instid1(VALU_DEP_1)
	v_div_fmas_f64 v[4:5], v[4:5], v[12:13], v[22:23]
	v_div_fixup_f64 v[36:37], v[4:5], v[2:3], v[10:11]
	v_cmpx_le_f64_e32 0, v[32:33]
	s_xor_b32 s2, exec_lo, s2
	s_cbranch_execz .LBB1_138
; %bb.135:                              ;   in Loop: Header=BB1_93 Depth=3
	s_mov_b32 s33, exec_lo
	s_delay_alu instid0(VALU_DEP_2)
	v_cmpx_gt_f64_e32 v[36:37], v[32:33]
	s_xor_b32 s33, exec_lo, s33
; %bb.136:                              ;   in Loop: Header=BB1_93 Depth=3
	v_mov_b64_e32 v[32:33], v[36:37]
; %bb.137:                              ;   in Loop: Header=BB1_93 Depth=3
	s_or_b32 exec_lo, exec_lo, s33
                                        ; implicit-def: $vgpr36_vgpr37
.LBB1_138:                              ;   in Loop: Header=BB1_93 Depth=3
	s_and_not1_saveexec_b32 s2, s2
	s_cbranch_execz .LBB1_91
; %bb.139:                              ;   in Loop: Header=BB1_93 Depth=3
	s_mov_b32 s33, exec_lo
	s_delay_alu instid0(VALU_DEP_1)
	v_cmpx_lt_f64_e32 v[36:37], v[32:33]
	s_xor_b32 s33, exec_lo, s33
	s_cbranch_execz .LBB1_90
; %bb.140:                              ;   in Loop: Header=BB1_93 Depth=3
	v_mov_b64_e32 v[32:33], v[36:37]
	s_branch .LBB1_90
.LBB1_141:                              ;   in Loop: Header=BB1_81 Depth=2
	s_or_b32 exec_lo, exec_lo, s1
	s_delay_alu instid0(SALU_CYCLE_1)
	s_mov_b32 s0, exec_lo
                                        ; implicit-def: $vgpr56_vgpr57
	v_cmpx_nlt_f64_e32 s[34:35], v[0:1]
	s_xor_b32 s0, exec_lo, s0
; %bb.142:                              ;   in Loop: Header=BB1_81 Depth=2
	v_mul_f64_e32 v[56:57], 0x40140000, v[54:55]
; %bb.143:                              ;   in Loop: Header=BB1_81 Depth=2
	s_or_saveexec_b32 s2, s0
	scratch_load_b64 v[92:93], off, off offset:8 ; 8-byte Folded Reload
	s_wait_xcnt 0x0
	s_xor_b32 exec_lo, exec_lo, s2
	s_cbranch_execz .LBB1_145
; %bb.144:                              ;   in Loop: Header=BB1_81 Depth=2
	v_frexp_mant_f64_e32 v[2:3], v[0:1]
	s_delay_alu instid0(VALU_DEP_1) | instskip(SKIP_1) | instid1(VALU_DEP_1)
	v_cmp_gt_f64_e32 vcc_lo, s[14:15], v[2:3]
	v_cndmask_b32_e64 v4, 0, 1, vcc_lo
	v_ldexp_f64 v[2:3], v[2:3], v4
	s_delay_alu instid0(VALU_DEP_1) | instskip(SKIP_1) | instid1(VALU_DEP_2)
	v_add_f64_e32 v[4:5], 1.0, v[2:3]
	v_add_f64_e32 v[22:23], -1.0, v[2:3]
	v_rcp_f64_e32 v[10:11], v[4:5]
	v_add_f64_e32 v[24:25], -1.0, v[4:5]
	s_delay_alu instid0(VALU_DEP_1) | instskip(NEXT) | instid1(TRANS32_DEP_1)
	v_add_f64_e64 v[2:3], v[2:3], -v[24:25]
	v_fma_f64 v[12:13], -v[4:5], v[10:11], 1.0
	s_delay_alu instid0(VALU_DEP_1) | instskip(NEXT) | instid1(VALU_DEP_1)
	v_fmac_f64_e32 v[10:11], v[12:13], v[10:11]
	v_fma_f64 v[12:13], -v[4:5], v[10:11], 1.0
	s_delay_alu instid0(VALU_DEP_1) | instskip(NEXT) | instid1(VALU_DEP_1)
	v_fmac_f64_e32 v[10:11], v[12:13], v[10:11]
	v_mul_f64_e32 v[12:13], v[22:23], v[10:11]
	s_delay_alu instid0(VALU_DEP_1) | instskip(NEXT) | instid1(VALU_DEP_1)
	v_mul_f64_e32 v[30:31], v[4:5], v[12:13]
	v_fma_f64 v[4:5], v[12:13], v[4:5], -v[30:31]
	s_delay_alu instid0(VALU_DEP_1) | instskip(NEXT) | instid1(VALU_DEP_1)
	v_fmac_f64_e32 v[4:5], v[12:13], v[2:3]
	v_add_f64_e32 v[2:3], v[30:31], v[4:5]
	s_delay_alu instid0(VALU_DEP_1) | instskip(SKIP_1) | instid1(VALU_DEP_2)
	v_add_f64_e64 v[24:25], v[22:23], -v[2:3]
	v_add_f64_e64 v[30:31], v[2:3], -v[30:31]
	;; [unrolled: 1-line block ×3, first 2 shown]
	s_delay_alu instid0(VALU_DEP_2) | instskip(NEXT) | instid1(VALU_DEP_2)
	v_add_f64_e64 v[4:5], v[30:31], -v[4:5]
	v_add_f64_e64 v[2:3], v[22:23], -v[2:3]
	s_delay_alu instid0(VALU_DEP_1) | instskip(NEXT) | instid1(VALU_DEP_1)
	v_add_f64_e32 v[2:3], v[4:5], v[2:3]
	v_add_f64_e32 v[2:3], v[24:25], v[2:3]
	v_mov_b64_e32 v[24:25], 0x3fba6564968915a9
	s_delay_alu instid0(VALU_DEP_2) | instskip(NEXT) | instid1(VALU_DEP_1)
	v_mul_f64_e32 v[2:3], v[10:11], v[2:3]
	v_add_f64_e32 v[4:5], v[12:13], v[2:3]
	s_delay_alu instid0(VALU_DEP_1) | instskip(SKIP_1) | instid1(VALU_DEP_2)
	v_add_f64_e64 v[10:11], v[4:5], -v[12:13]
	v_mul_f64_e32 v[12:13], v[4:5], v[4:5]
	v_add_f64_e64 v[2:3], v[2:3], -v[10:11]
	s_delay_alu instid0(VALU_DEP_2) | instskip(NEXT) | instid1(VALU_DEP_2)
	v_fma_f64 v[10:11], v[4:5], v[4:5], -v[12:13]
	v_add_f64_e32 v[22:23], v[2:3], v[2:3]
	s_delay_alu instid0(VALU_DEP_1) | instskip(NEXT) | instid1(VALU_DEP_1)
	v_fmac_f64_e32 v[10:11], v[4:5], v[22:23]
	v_add_f64_e32 v[22:23], v[12:13], v[10:11]
	s_delay_alu instid0(VALU_DEP_1) | instskip(SKIP_2) | instid1(VALU_DEP_3)
	v_fmamk_f64 v[24:25], v[22:23], 0x3fbdee674222de17, v[24:25]
	v_add_f64_e64 v[12:13], v[22:23], -v[12:13]
	v_mul_f64_e32 v[36:37], v[4:5], v[22:23]
	v_fmaak_f64 v[24:25], v[22:23], v[24:25], 0x3fbe25e43abe935a
	s_delay_alu instid0(VALU_DEP_1) | instskip(NEXT) | instid1(VALU_DEP_1)
	v_fmaak_f64 v[24:25], v[22:23], v[24:25], 0x3fc110ef47e6c9c2
	v_fmaak_f64 v[24:25], v[22:23], v[24:25], 0x3fc3b13bcfa74449
	s_delay_alu instid0(VALU_DEP_1) | instskip(SKIP_1) | instid1(VALU_DEP_2)
	v_fmaak_f64 v[24:25], v[22:23], v[24:25], 0x3fc745d171bf3c30
	v_add_f64_e64 v[10:11], v[10:11], -v[12:13]
	v_fmaak_f64 v[24:25], v[22:23], v[24:25], 0x3fcc71c71c7792ce
	s_delay_alu instid0(VALU_DEP_1) | instskip(NEXT) | instid1(VALU_DEP_1)
	v_fmaak_f64 v[24:25], v[22:23], v[24:25], 0x3fd24924924920da
	v_fmaak_f64 v[24:25], v[22:23], v[24:25], 0x3fd999999999999c
	s_delay_alu instid0(VALU_DEP_1) | instskip(NEXT) | instid1(VALU_DEP_1)
	v_mul_f64_e32 v[30:31], v[22:23], v[24:25]
	v_fma_f64 v[12:13], v[22:23], v[24:25], -v[30:31]
	s_delay_alu instid0(VALU_DEP_1) | instskip(NEXT) | instid1(VALU_DEP_1)
	v_fmac_f64_e32 v[12:13], v[10:11], v[24:25]
	v_add_f64_e32 v[24:25], v[30:31], v[12:13]
	s_delay_alu instid0(VALU_DEP_1) | instskip(SKIP_1) | instid1(VALU_DEP_2)
	v_add_f64_e32 v[32:33], 0x3fe5555555555555, v[24:25]
	v_add_f64_e64 v[30:31], v[24:25], -v[30:31]
	v_add_f64_e32 v[38:39], 0xbfe5555555555555, v[32:33]
	s_delay_alu instid0(VALU_DEP_2) | instskip(SKIP_1) | instid1(VALU_DEP_3)
	v_add_f64_e64 v[12:13], v[12:13], -v[30:31]
	v_fma_f64 v[30:31], v[22:23], v[4:5], -v[36:37]
	v_add_f64_e64 v[24:25], v[24:25], -v[38:39]
	s_delay_alu instid0(VALU_DEP_3) | instskip(NEXT) | instid1(VALU_DEP_3)
	v_add_f64_e32 v[12:13], 0x3c8543b0d5df274d, v[12:13]
	v_fmac_f64_e32 v[30:31], v[22:23], v[2:3]
	v_ldexp_f64 v[2:3], v[2:3], 1
	s_delay_alu instid0(VALU_DEP_3) | instskip(NEXT) | instid1(VALU_DEP_3)
	v_add_f64_e32 v[12:13], v[12:13], v[24:25]
	v_fmac_f64_e32 v[30:31], v[10:11], v[4:5]
	v_ldexp_f64 v[4:5], v[4:5], 1
	s_delay_alu instid0(VALU_DEP_3) | instskip(NEXT) | instid1(VALU_DEP_3)
	v_add_f64_e32 v[10:11], v[32:33], v[12:13]
	v_add_f64_e32 v[22:23], v[36:37], v[30:31]
	s_delay_alu instid0(VALU_DEP_2) | instskip(NEXT) | instid1(VALU_DEP_2)
	v_add_f64_e64 v[24:25], v[32:33], -v[10:11]
	v_mul_f64_e32 v[32:33], v[22:23], v[10:11]
	v_add_f64_e64 v[36:37], v[22:23], -v[36:37]
	s_delay_alu instid0(VALU_DEP_3) | instskip(NEXT) | instid1(VALU_DEP_3)
	v_add_f64_e32 v[12:13], v[12:13], v[24:25]
	v_fma_f64 v[24:25], v[22:23], v[10:11], -v[32:33]
	s_delay_alu instid0(VALU_DEP_3) | instskip(NEXT) | instid1(VALU_DEP_2)
	v_add_f64_e64 v[30:31], v[30:31], -v[36:37]
	v_fmac_f64_e32 v[24:25], v[22:23], v[12:13]
	v_frexp_exp_i32_f64_e32 v12, v[0:1]
	s_delay_alu instid0(VALU_DEP_2) | instskip(NEXT) | instid1(VALU_DEP_2)
	v_fmac_f64_e32 v[24:25], v[30:31], v[10:11]
	v_subrev_co_ci_u32_e64 v12, null, 0, v12, vcc_lo
	v_cmp_eq_f64_e32 vcc_lo, 1.0, v[0:1]
	s_delay_alu instid0(VALU_DEP_2) | instskip(NEXT) | instid1(VALU_DEP_4)
	v_cvt_f64_i32_e32 v[12:13], v12
	v_add_f64_e32 v[10:11], v[32:33], v[24:25]
	s_delay_alu instid0(VALU_DEP_1) | instskip(SKIP_1) | instid1(VALU_DEP_4)
	v_add_f64_e32 v[22:23], v[4:5], v[10:11]
	v_add_f64_e64 v[30:31], v[10:11], -v[32:33]
	v_mul_f64_e32 v[32:33], 0x3fe62e42fefa39ef, v[12:13]
	s_delay_alu instid0(VALU_DEP_3) | instskip(NEXT) | instid1(VALU_DEP_3)
	v_add_f64_e64 v[4:5], v[22:23], -v[4:5]
	v_add_f64_e64 v[24:25], v[24:25], -v[30:31]
	s_delay_alu instid0(VALU_DEP_3) | instskip(NEXT) | instid1(VALU_DEP_3)
	v_fma_f64 v[30:31], v[12:13], s[16:17], -v[32:33]
	v_add_f64_e64 v[4:5], v[10:11], -v[4:5]
	s_delay_alu instid0(VALU_DEP_3) | instskip(NEXT) | instid1(VALU_DEP_3)
	v_add_f64_e32 v[2:3], v[2:3], v[24:25]
	v_fmac_f64_e32 v[30:31], 0x3c7abc9e3b39803f, v[12:13]
	s_delay_alu instid0(VALU_DEP_2) | instskip(NEXT) | instid1(VALU_DEP_2)
	v_add_f64_e32 v[2:3], v[2:3], v[4:5]
	v_add_f64_e32 v[4:5], v[32:33], v[30:31]
	s_delay_alu instid0(VALU_DEP_2) | instskip(NEXT) | instid1(VALU_DEP_2)
	v_add_f64_e32 v[10:11], v[22:23], v[2:3]
	v_add_f64_e64 v[32:33], v[4:5], -v[32:33]
	s_delay_alu instid0(VALU_DEP_2) | instskip(SKIP_1) | instid1(VALU_DEP_3)
	v_add_f64_e32 v[12:13], v[4:5], v[10:11]
	v_add_f64_e64 v[22:23], v[10:11], -v[22:23]
	v_add_f64_e64 v[30:31], v[30:31], -v[32:33]
	s_delay_alu instid0(VALU_DEP_3) | instskip(NEXT) | instid1(VALU_DEP_3)
	v_add_f64_e64 v[24:25], v[12:13], -v[4:5]
	v_add_f64_e64 v[2:3], v[2:3], -v[22:23]
	s_delay_alu instid0(VALU_DEP_2) | instskip(SKIP_1) | instid1(VALU_DEP_3)
	v_add_f64_e64 v[36:37], v[12:13], -v[24:25]
	v_add_f64_e64 v[10:11], v[10:11], -v[24:25]
	v_add_f64_e32 v[22:23], v[30:31], v[2:3]
	s_delay_alu instid0(VALU_DEP_3) | instskip(NEXT) | instid1(VALU_DEP_1)
	v_add_f64_e64 v[4:5], v[4:5], -v[36:37]
	v_add_f64_e32 v[4:5], v[10:11], v[4:5]
	s_delay_alu instid0(VALU_DEP_3) | instskip(NEXT) | instid1(VALU_DEP_2)
	v_add_f64_e64 v[10:11], v[22:23], -v[30:31]
	v_add_f64_e32 v[4:5], v[22:23], v[4:5]
	s_delay_alu instid0(VALU_DEP_2) | instskip(SKIP_1) | instid1(VALU_DEP_3)
	v_add_f64_e64 v[22:23], v[22:23], -v[10:11]
	v_add_f64_e64 v[2:3], v[2:3], -v[10:11]
	v_add_f64_e32 v[24:25], v[12:13], v[4:5]
	s_delay_alu instid0(VALU_DEP_3) | instskip(NEXT) | instid1(VALU_DEP_2)
	v_add_f64_e64 v[10:11], v[30:31], -v[22:23]
	v_add_f64_e64 v[12:13], v[24:25], -v[12:13]
	s_delay_alu instid0(VALU_DEP_2) | instskip(NEXT) | instid1(VALU_DEP_2)
	v_add_f64_e32 v[2:3], v[2:3], v[10:11]
	v_add_f64_e64 v[4:5], v[4:5], -v[12:13]
	s_delay_alu instid0(VALU_DEP_1) | instskip(SKIP_1) | instid1(VALU_DEP_1)
	v_add_f64_e32 v[2:3], v[2:3], v[4:5]
	v_mov_b32_e32 v4, 0x3ff00000
	v_cndmask_b32_e32 v5, 0xbfc99999, v4, vcc_lo
	v_cndmask_b32_e64 v4, 0x9999999a, 0, vcc_lo
	s_delay_alu instid0(VALU_DEP_4) | instskip(NEXT) | instid1(VALU_DEP_1)
	v_add_f64_e32 v[0:1], v[24:25], v[2:3]
	v_add_f64_e64 v[10:11], v[0:1], -v[24:25]
	s_delay_alu instid0(VALU_DEP_3) | instskip(SKIP_1) | instid1(VALU_DEP_3)
	v_mul_f64_e32 v[12:13], v[4:5], v[0:1]
	v_mov_b64_e32 v[24:25], 0x3e928af3fca7ab0c
	v_add_f64_e64 v[2:3], v[2:3], -v[10:11]
	s_delay_alu instid0(VALU_DEP_3) | instskip(SKIP_1) | instid1(VALU_DEP_2)
	v_fma_f64 v[0:1], v[4:5], v[0:1], -v[12:13]
	v_cmp_class_f64_e64 vcc_lo, v[12:13], 0x204
	v_fmac_f64_e32 v[0:1], v[4:5], v[2:3]
	s_delay_alu instid0(VALU_DEP_1) | instskip(NEXT) | instid1(VALU_DEP_1)
	v_add_f64_e32 v[2:3], v[12:13], v[0:1]
	v_dual_cndmask_b32 v5, v3, v13 :: v_dual_cndmask_b32 v4, v2, v12
	v_add_f64_e64 v[2:3], v[2:3], -v[12:13]
	s_delay_alu instid0(VALU_DEP_2)
	v_mul_f64_e32 v[10:11], 0x3ff71547652b82fe, v[4:5]
	v_cmp_nlt_f64_e64 s0, 0x40900000, v[4:5]
	v_cmp_neq_f64_e64 vcc_lo, 0x7ff00000, |v[4:5]|
	v_cmp_ngt_f64_e64 s1, 0xc090cc00, v[4:5]
	v_add_f64_e64 v[0:1], v[0:1], -v[2:3]
	v_rndne_f64_e32 v[10:11], v[10:11]
	s_delay_alu instid0(VALU_DEP_2) | instskip(SKIP_1) | instid1(VALU_DEP_2)
	v_dual_cndmask_b32 v1, 0, v1 :: v_dual_cndmask_b32 v0, 0, v0
	s_and_b32 vcc_lo, s1, s0
	v_fmamk_f64 v[22:23], v[10:11], 0xbfe62e42fefa39ef, v[4:5]
	v_cvt_i32_f64_e32 v30, v[10:11]
	v_mul_f64_e32 v[4:5], 0x3feccccccccccccd, v[54:55]
	s_delay_alu instid0(VALU_DEP_3) | instskip(NEXT) | instid1(VALU_DEP_1)
	v_fmac_f64_e32 v[22:23], 0xbc7abc9e3b39803f, v[10:11]
	v_fmamk_f64 v[24:25], v[22:23], 0x3e5ade156a5dcb37, v[24:25]
	s_delay_alu instid0(VALU_DEP_1) | instskip(NEXT) | instid1(VALU_DEP_1)
	v_fmaak_f64 v[24:25], v[22:23], v[24:25], 0x3ec71dee623fde64
	v_fmaak_f64 v[24:25], v[22:23], v[24:25], 0x3efa01997c89e6b0
	s_delay_alu instid0(VALU_DEP_1) | instskip(NEXT) | instid1(VALU_DEP_1)
	v_fmaak_f64 v[24:25], v[22:23], v[24:25], 0x3f2a01a014761f6e
	v_fmaak_f64 v[24:25], v[22:23], v[24:25], 0x3f56c16c1852b7b0
	;; [unrolled: 3-line block ×4, first 2 shown]
	s_delay_alu instid0(VALU_DEP_1) | instskip(NEXT) | instid1(VALU_DEP_1)
	v_fma_f64 v[24:25], v[22:23], v[24:25], 1.0
	v_fma_f64 v[10:11], v[22:23], v[24:25], 1.0
	s_delay_alu instid0(VALU_DEP_1) | instskip(NEXT) | instid1(VALU_DEP_1)
	v_ldexp_f64 v[10:11], v[10:11], v30
	v_cndmask_b32_e64 v2, 0x7ff00000, v11, s0
	s_delay_alu instid0(VALU_DEP_1) | instskip(NEXT) | instid1(VALU_DEP_3)
	v_cndmask_b32_e64 v3, 0, v2, s1
	v_cndmask_b32_e32 v2, 0, v10, vcc_lo
	s_delay_alu instid0(VALU_DEP_1) | instskip(SKIP_1) | instid1(VALU_DEP_2)
	v_fma_f64 v[0:1], v[2:3], v[0:1], v[2:3]
	v_cmp_class_f64_e64 vcc_lo, v[2:3], 0x204
	v_dual_cndmask_b32 v1, v1, v3 :: v_dual_cndmask_b32 v0, v0, v2
	s_delay_alu instid0(VALU_DEP_1)
	v_mul_f64_e64 v[56:57], v[4:5], |v[0:1]|
.LBB1_145:                              ;   in Loop: Header=BB1_81 Depth=2
	s_or_b32 exec_lo, exec_lo, s2
	scratch_load_b64 v[0:1], off, off offset:32 th:TH_LOAD_LU ; 8-byte Folded Reload
	v_fmac_f64_e32 v[74:75], 0x3fb90ee643b990ee, v[80:81]
	s_mov_b32 s2, -1
	s_delay_alu instid0(VALU_DEP_1) | instskip(NEXT) | instid1(VALU_DEP_1)
	v_fmac_f64_e32 v[74:75], 0x3fd9c3d02e2bb280, v[88:89]
	v_fmac_f64_e32 v[74:75], 0x3fcaef9f76166929, v[100:101]
	s_delay_alu instid0(VALU_DEP_1) | instskip(NEXT) | instid1(VALU_DEP_1)
	v_fmac_f64_e32 v[74:75], 0x3fd280a685dab4b0, v[34:35]
	v_cmp_nlt_f64_e64 s0, 0x408f4000, v[74:75]
	s_wait_loadcnt 0x0
	v_cmp_nlt_f64_e32 vcc_lo, 0, v[0:1]
	scratch_load_b64 v[0:1], off, off offset:168 ; 8-byte Folded Reload
	s_or_b32 s0, s0, vcc_lo
	s_wait_loadcnt 0x0
	v_cmp_nlt_f64_e64 s1, v[74:75], v[0:1]
	s_and_b32 s33, s1, s0
	s_mov_b32 s1, -1
	s_wait_xcnt 0x0
	s_and_saveexec_b32 s0, s33
	s_cbranch_execz .LBB1_80
; %bb.146:                              ;   in Loop: Header=BB1_81 Depth=2
	s_clause 0x2
	scratch_load_b64 v[0:1], off, off offset:152 th:TH_LOAD_LU
	scratch_load_b64 v[4:5], off, off offset:160 th:TH_LOAD_LU
	scratch_load_b64 v[2:3], off, off th:TH_LOAD_LU
	v_fmac_f64_e32 v[92:93], 0x3fb90ee643b990ee, v[52:53]
	v_fmac_f64_e32 v[126:127], 0x3fb90ee643b990ee, v[82:83]
	v_cmp_gt_f64_e32 vcc_lo, 0x407f4000, v[74:75]
	s_xor_b32 s1, exec_lo, -1
	s_delay_alu instid0(VALU_DEP_3) | instskip(NEXT) | instid1(VALU_DEP_3)
	v_fmac_f64_e32 v[92:93], 0x3fd9c3d02e2bb280, v[84:85]
	v_fmac_f64_e32 v[126:127], 0x3fd9c3d02e2bb280, v[96:97]
	s_or_not1_b32 s2, vcc_lo, exec_lo
	s_delay_alu instid0(VALU_DEP_2) | instskip(NEXT) | instid1(VALU_DEP_2)
	v_fmac_f64_e32 v[92:93], 0x3fcaef9f76166929, v[90:91]
	v_fmac_f64_e32 v[126:127], 0x3fcaef9f76166929, v[118:119]
	s_delay_alu instid0(VALU_DEP_2) | instskip(NEXT) | instid1(VALU_DEP_2)
	v_fmac_f64_e32 v[92:93], 0x3fd280a685dab4b0, v[6:7]
	v_fmac_f64_e32 v[126:127], 0x3fd280a685dab4b0, v[18:19]
	s_wait_loadcnt 0x2
	v_fmac_f64_e32 v[0:1], 0x3fb90ee643b990ee, v[110:111]
	s_wait_loadcnt 0x1
	v_fmac_f64_e32 v[4:5], 0x3fb90ee643b990ee, v[108:109]
	s_wait_loadcnt 0x0
	v_fmac_f64_e32 v[2:3], 0x3fb90ee643b990ee, v[78:79]
	s_delay_alu instid0(VALU_DEP_3) | instskip(NEXT) | instid1(VALU_DEP_3)
	v_fmac_f64_e32 v[0:1], 0x3fd9c3d02e2bb280, v[102:103]
	v_fmac_f64_e32 v[4:5], 0x3fd9c3d02e2bb280, v[112:113]
	s_delay_alu instid0(VALU_DEP_3) | instskip(NEXT) | instid1(VALU_DEP_3)
	v_fmac_f64_e32 v[2:3], 0x3fd9c3d02e2bb280, v[86:87]
	;; [unrolled: 3-line block ×4, first 2 shown]
	v_fmac_f64_e32 v[4:5], 0x3fd280a685dab4b0, v[16:17]
	s_delay_alu instid0(VALU_DEP_3)
	v_fmac_f64_e32 v[2:3], 0x3fd280a685dab4b0, v[20:21]
	s_clause 0x2
	scratch_store_b64 off, v[0:1], off offset:152
	scratch_store_b64 off, v[4:5], off offset:160
	scratch_store_b64 off, v[2:3], off
	s_branch .LBB1_80
.LBB1_147:                              ;   in Loop: Header=BB1_79 Depth=1
	s_or_b32 exec_lo, exec_lo, s4
	s_mov_b32 s0, -1
                                        ; implicit-def: $vgpr50_vgpr51
	s_and_saveexec_b32 s1, s3
	s_delay_alu instid0(SALU_CYCLE_1)
	s_xor_b32 s33, exec_lo, s1
	s_cbranch_execz .LBB1_78
; %bb.148:                              ;   in Loop: Header=BB1_79 Depth=1
	v_cmp_ngt_f64_e64 s4, 0x41d00000, |v[92:93]|
	v_trig_preop_f64 v[18:19], |v[92:93]|, 0
	v_trig_preop_f64 v[16:17], |v[92:93]|, 1
	v_ldexp_f64 v[20:21], |v[92:93]|, 0xffffff80
	v_trig_preop_f64 v[0:1], |v[92:93]|, 2
	v_and_b32_e32 v50, 0x7fffffff, v93
                                        ; implicit-def: $vgpr10
                                        ; implicit-def: $vgpr42_vgpr43
                                        ; implicit-def: $vgpr52_vgpr53
	s_and_saveexec_b32 s0, s4
	s_delay_alu instid0(SALU_CYCLE_1)
	s_xor_b32 s0, exec_lo, s0
	s_cbranch_execz .LBB1_150
; %bb.149:                              ;   in Loop: Header=BB1_79 Depth=1
	v_cmp_le_f64_e64 vcc_lo, 0x7b000000, |v[92:93]|
	s_delay_alu instid0(VALU_DEP_4) | instskip(NEXT) | instid1(VALU_DEP_1)
	v_dual_cndmask_b32 v3, v50, v21 :: v_dual_cndmask_b32 v2, v92, v20
	v_mul_f64_e32 v[4:5], v[18:19], v[2:3]
	v_mul_f64_e32 v[6:7], v[16:17], v[2:3]
	v_mul_f64_e32 v[30:31], v[0:1], v[2:3]
	s_delay_alu instid0(VALU_DEP_3) | instskip(NEXT) | instid1(VALU_DEP_3)
	v_fma_f64 v[10:11], v[18:19], v[2:3], -v[4:5]
	v_fma_f64 v[32:33], v[16:17], v[2:3], -v[6:7]
	s_delay_alu instid0(VALU_DEP_3) | instskip(NEXT) | instid1(VALU_DEP_3)
	v_fma_f64 v[2:3], v[0:1], v[2:3], -v[30:31]
	v_add_f64_e32 v[12:13], v[6:7], v[10:11]
	s_delay_alu instid0(VALU_DEP_1) | instskip(SKIP_1) | instid1(VALU_DEP_2)
	v_add_f64_e64 v[14:15], v[12:13], -v[6:7]
	v_add_f64_e32 v[24:25], v[4:5], v[12:13]
	v_add_f64_e64 v[22:23], v[12:13], -v[14:15]
	v_add_f64_e64 v[10:11], v[10:11], -v[14:15]
	s_delay_alu instid0(VALU_DEP_3) | instskip(NEXT) | instid1(VALU_DEP_3)
	v_ldexp_f64 v[14:15], v[24:25], -2
	v_add_f64_e64 v[6:7], v[6:7], -v[22:23]
	s_delay_alu instid0(VALU_DEP_2) | instskip(NEXT) | instid1(VALU_DEP_2)
	v_cmp_neq_f64_e64 vcc_lo, 0x7ff00000, |v[14:15]|
	v_add_f64_e32 v[6:7], v[10:11], v[6:7]
	v_fract_f64_e32 v[10:11], v[14:15]
	s_delay_alu instid0(VALU_DEP_1) | instskip(NEXT) | instid1(VALU_DEP_1)
	v_ldexp_f64 v[10:11], v[10:11], 2
	v_dual_add_f64 v[22:23], v[30:31], v[32:33] :: v_dual_cndmask_b32 v10, 0, v10, vcc_lo
	s_delay_alu instid0(VALU_DEP_2) | instskip(NEXT) | instid1(VALU_DEP_1)
	v_dual_add_f64 v[4:5], v[24:25], -v[4:5] :: v_dual_cndmask_b32 v11, 0, v11, vcc_lo
	v_add_f64_e64 v[4:5], v[12:13], -v[4:5]
	s_delay_alu instid0(VALU_DEP_3) | instskip(NEXT) | instid1(VALU_DEP_1)
	v_add_f64_e32 v[12:13], v[22:23], v[6:7]
	v_add_f64_e32 v[14:15], v[4:5], v[12:13]
	v_add_f64_e64 v[34:35], v[12:13], -v[22:23]
	s_delay_alu instid0(VALU_DEP_2) | instskip(NEXT) | instid1(VALU_DEP_2)
	v_add_f64_e32 v[24:25], v[14:15], v[10:11]
	v_add_f64_e64 v[42:43], v[12:13], -v[34:35]
	v_add_f64_e64 v[6:7], v[6:7], -v[34:35]
	;; [unrolled: 1-line block ×3, first 2 shown]
	s_delay_alu instid0(VALU_DEP_4) | instskip(SKIP_1) | instid1(VALU_DEP_3)
	v_cmp_gt_f64_e32 vcc_lo, 0, v[24:25]
	v_add_f64_e64 v[24:25], v[22:23], -v[30:31]
	v_add_f64_e64 v[4:5], v[12:13], -v[4:5]
	v_cndmask_b32_e64 v41, 0, 0x40100000, vcc_lo
	s_delay_alu instid0(VALU_DEP_3) | instskip(SKIP_2) | instid1(VALU_DEP_4)
	v_add_f64_e64 v[38:39], v[22:23], -v[24:25]
	v_add_f64_e64 v[24:25], v[32:33], -v[24:25]
	;; [unrolled: 1-line block ×3, first 2 shown]
	v_add_f64_e32 v[10:11], v[10:11], v[40:41]
	s_delay_alu instid0(VALU_DEP_4) | instskip(NEXT) | instid1(VALU_DEP_3)
	v_add_f64_e64 v[32:33], v[30:31], -v[38:39]
	v_add_f64_e32 v[6:7], v[6:7], v[22:23]
	s_delay_alu instid0(VALU_DEP_3) | instskip(NEXT) | instid1(VALU_DEP_3)
	v_add_f64_e32 v[36:37], v[14:15], v[10:11]
	v_add_f64_e32 v[24:25], v[24:25], v[32:33]
	s_delay_alu instid0(VALU_DEP_2) | instskip(NEXT) | instid1(VALU_DEP_2)
	v_cvt_i32_f64_e32 v36, v[36:37]
	v_add_f64_e32 v[6:7], v[24:25], v[6:7]
	s_delay_alu instid0(VALU_DEP_2) | instskip(NEXT) | instid1(VALU_DEP_2)
	v_cvt_f64_i32_e32 v[34:35], v36
	v_add_f64_e32 v[2:3], v[2:3], v[6:7]
	s_delay_alu instid0(VALU_DEP_2) | instskip(NEXT) | instid1(VALU_DEP_2)
	v_add_f64_e64 v[10:11], v[10:11], -v[34:35]
	v_add_f64_e32 v[2:3], v[4:5], v[2:3]
	s_delay_alu instid0(VALU_DEP_2) | instskip(NEXT) | instid1(VALU_DEP_1)
	v_add_f64_e32 v[22:23], v[14:15], v[10:11]
	v_add_f64_e64 v[6:7], v[22:23], -v[10:11]
	v_cmp_le_f64_e32 vcc_lo, 0.5, v[22:23]
	s_delay_alu instid0(VALU_DEP_2) | instskip(SKIP_2) | instid1(VALU_DEP_3)
	v_add_f64_e64 v[4:5], v[14:15], -v[6:7]
	v_cndmask_b32_e64 v41, 0, 0x3ff00000, vcc_lo
	v_add_co_ci_u32_e64 v10, null, 0, v36, vcc_lo
	v_add_f64_e32 v[2:3], v[2:3], v[4:5]
	s_delay_alu instid0(VALU_DEP_3) | instskip(NEXT) | instid1(VALU_DEP_1)
	v_add_f64_e64 v[4:5], v[22:23], -v[40:41]
	v_add_f64_e32 v[6:7], v[4:5], v[2:3]
	s_delay_alu instid0(VALU_DEP_1) | instskip(SKIP_1) | instid1(VALU_DEP_2)
	v_mul_f64_e32 v[12:13], 0x3ff921fb54442d18, v[6:7]
	v_add_f64_e64 v[4:5], v[6:7], -v[4:5]
	v_fma_f64 v[14:15], v[6:7], s[20:21], -v[12:13]
	s_delay_alu instid0(VALU_DEP_2) | instskip(NEXT) | instid1(VALU_DEP_2)
	v_add_f64_e64 v[2:3], v[2:3], -v[4:5]
	v_fmac_f64_e32 v[14:15], 0x3c91a62633145c07, v[6:7]
	s_delay_alu instid0(VALU_DEP_1) | instskip(NEXT) | instid1(VALU_DEP_1)
	v_fmac_f64_e32 v[14:15], 0x3ff921fb54442d18, v[2:3]
	v_add_f64_e32 v[42:43], v[12:13], v[14:15]
	s_delay_alu instid0(VALU_DEP_1) | instskip(NEXT) | instid1(VALU_DEP_1)
	v_add_f64_e64 v[2:3], v[42:43], -v[12:13]
	v_add_f64_e64 v[52:53], v[14:15], -v[2:3]
.LBB1_150:                              ;   in Loop: Header=BB1_79 Depth=1
	s_or_saveexec_b32 s0, s0
	v_mul_f64_e64 v[2:3], |v[92:93]|, s[22:23]
	s_delay_alu instid0(VALU_DEP_1)
	v_rndne_f64_e32 v[44:45], v[2:3]
	s_xor_b32 exec_lo, exec_lo, s0
	s_cbranch_execz .LBB1_152
; %bb.151:                              ;   in Loop: Header=BB1_79 Depth=1
	s_delay_alu instid0(VALU_DEP_1) | instskip(SKIP_1) | instid1(VALU_DEP_1)
	v_fma_f64 v[2:3], v[44:45], s[24:25], |v[92:93]|
	v_mul_f64_e32 v[4:5], 0xbc91a62633145c00, v[44:45]
	v_add_f64_e32 v[6:7], v[2:3], v[4:5]
	s_delay_alu instid0(VALU_DEP_1) | instskip(SKIP_1) | instid1(VALU_DEP_1)
	v_add_f64_e64 v[10:11], v[2:3], -v[6:7]
	v_fmamk_f64 v[2:3], v[44:45], 0xbc91a62633145c00, v[2:3]
	v_add_f64_e64 v[6:7], v[6:7], -v[2:3]
	s_delay_alu instid0(VALU_DEP_3) | instskip(SKIP_1) | instid1(VALU_DEP_2)
	v_add_f64_e32 v[10:11], v[10:11], v[4:5]
	v_fmamk_f64 v[4:5], v[44:45], 0x3c91a62633145c00, v[4:5]
	v_add_f64_e32 v[6:7], v[6:7], v[10:11]
	v_cvt_i32_f64_e32 v10, v[44:45]
	s_delay_alu instid0(VALU_DEP_2) | instskip(NEXT) | instid1(VALU_DEP_1)
	v_add_f64_e64 v[4:5], v[6:7], -v[4:5]
	v_fmac_f64_e32 v[4:5], 0xb97b839a252049c0, v[44:45]
	s_delay_alu instid0(VALU_DEP_1) | instskip(NEXT) | instid1(VALU_DEP_1)
	v_add_f64_e32 v[42:43], v[2:3], v[4:5]
	v_add_f64_e64 v[2:3], v[42:43], -v[2:3]
	s_delay_alu instid0(VALU_DEP_1)
	v_add_f64_e64 v[52:53], v[4:5], -v[2:3]
.LBB1_152:                              ;   in Loop: Header=BB1_79 Depth=1
	s_or_b32 exec_lo, exec_lo, s0
                                        ; implicit-def: $vgpr70
                                        ; implicit-def: $vgpr6_vgpr7
                                        ; implicit-def: $vgpr14_vgpr15
	s_and_saveexec_b32 s0, s4
	s_delay_alu instid0(SALU_CYCLE_1)
	s_xor_b32 s0, exec_lo, s0
	s_cbranch_execz .LBB1_154
; %bb.153:                              ;   in Loop: Header=BB1_79 Depth=1
	v_cmp_le_f64_e64 vcc_lo, 0x7b000000, |v[92:93]|
	v_dual_cndmask_b32 v3, v50, v21 :: v_dual_cndmask_b32 v2, v92, v20
	s_delay_alu instid0(VALU_DEP_1) | instskip(SKIP_2) | instid1(VALU_DEP_3)
	v_mul_f64_e32 v[4:5], v[18:19], v[2:3]
	v_mul_f64_e32 v[6:7], v[16:17], v[2:3]
	;; [unrolled: 1-line block ×3, first 2 shown]
	v_fma_f64 v[12:13], v[18:19], v[2:3], -v[4:5]
	s_delay_alu instid0(VALU_DEP_3) | instskip(NEXT) | instid1(VALU_DEP_3)
	v_fma_f64 v[34:35], v[16:17], v[2:3], -v[6:7]
	v_fma_f64 v[2:3], v[0:1], v[2:3], -v[32:33]
	s_delay_alu instid0(VALU_DEP_3) | instskip(NEXT) | instid1(VALU_DEP_1)
	v_add_f64_e32 v[14:15], v[6:7], v[12:13]
	v_add_f64_e64 v[22:23], v[14:15], -v[6:7]
	v_add_f64_e32 v[30:31], v[4:5], v[14:15]
	s_delay_alu instid0(VALU_DEP_2) | instskip(SKIP_1) | instid1(VALU_DEP_3)
	v_add_f64_e64 v[24:25], v[14:15], -v[22:23]
	v_add_f64_e64 v[12:13], v[12:13], -v[22:23]
	v_ldexp_f64 v[22:23], v[30:31], -2
	s_delay_alu instid0(VALU_DEP_3) | instskip(SKIP_1) | instid1(VALU_DEP_3)
	v_add_f64_e64 v[6:7], v[6:7], -v[24:25]
	v_add_f64_e32 v[24:25], v[32:33], v[34:35]
	v_cmp_neq_f64_e64 vcc_lo, 0x7ff00000, |v[22:23]|
	s_delay_alu instid0(VALU_DEP_3) | instskip(SKIP_1) | instid1(VALU_DEP_1)
	v_add_f64_e32 v[6:7], v[12:13], v[6:7]
	v_fract_f64_e32 v[12:13], v[22:23]
	v_ldexp_f64 v[12:13], v[12:13], 2
	s_delay_alu instid0(VALU_DEP_1) | instskip(SKIP_1) | instid1(VALU_DEP_3)
	v_cndmask_b32_e32 v13, 0, v13, vcc_lo
	v_add_f64_e64 v[4:5], v[30:31], -v[4:5]
	v_cndmask_b32_e32 v12, 0, v12, vcc_lo
	s_delay_alu instid0(VALU_DEP_2) | instskip(SKIP_1) | instid1(VALU_DEP_1)
	v_add_f64_e64 v[4:5], v[14:15], -v[4:5]
	v_add_f64_e32 v[14:15], v[24:25], v[6:7]
	v_add_f64_e32 v[22:23], v[4:5], v[14:15]
	v_add_f64_e64 v[36:37], v[14:15], -v[24:25]
	s_delay_alu instid0(VALU_DEP_2) | instskip(NEXT) | instid1(VALU_DEP_2)
	v_add_f64_e32 v[30:31], v[22:23], v[12:13]
	v_add_f64_e64 v[48:49], v[14:15], -v[36:37]
	v_add_f64_e64 v[6:7], v[6:7], -v[36:37]
	;; [unrolled: 1-line block ×3, first 2 shown]
	s_delay_alu instid0(VALU_DEP_4) | instskip(SKIP_1) | instid1(VALU_DEP_3)
	v_cmp_gt_f64_e32 vcc_lo, 0, v[30:31]
	v_add_f64_e64 v[30:31], v[24:25], -v[32:33]
	v_add_f64_e64 v[4:5], v[14:15], -v[4:5]
	v_cndmask_b32_e64 v41, 0, 0x40100000, vcc_lo
	s_delay_alu instid0(VALU_DEP_3) | instskip(SKIP_2) | instid1(VALU_DEP_4)
	v_add_f64_e64 v[46:47], v[24:25], -v[30:31]
	v_add_f64_e64 v[30:31], v[34:35], -v[30:31]
	v_add_f64_e64 v[24:25], v[24:25], -v[48:49]
	v_add_f64_e32 v[12:13], v[12:13], v[40:41]
	s_delay_alu instid0(VALU_DEP_4) | instskip(NEXT) | instid1(VALU_DEP_3)
	v_add_f64_e64 v[34:35], v[32:33], -v[46:47]
	v_add_f64_e32 v[6:7], v[6:7], v[24:25]
	s_delay_alu instid0(VALU_DEP_3) | instskip(NEXT) | instid1(VALU_DEP_3)
	v_add_f64_e32 v[38:39], v[22:23], v[12:13]
	v_add_f64_e32 v[30:31], v[30:31], v[34:35]
	s_delay_alu instid0(VALU_DEP_2) | instskip(NEXT) | instid1(VALU_DEP_2)
	v_cvt_i32_f64_e32 v11, v[38:39]
	v_add_f64_e32 v[6:7], v[30:31], v[6:7]
	s_delay_alu instid0(VALU_DEP_2) | instskip(NEXT) | instid1(VALU_DEP_2)
	v_cvt_f64_i32_e32 v[36:37], v11
	v_add_f64_e32 v[2:3], v[2:3], v[6:7]
	s_delay_alu instid0(VALU_DEP_2) | instskip(NEXT) | instid1(VALU_DEP_2)
	v_add_f64_e64 v[12:13], v[12:13], -v[36:37]
	v_add_f64_e32 v[2:3], v[4:5], v[2:3]
	s_delay_alu instid0(VALU_DEP_2) | instskip(NEXT) | instid1(VALU_DEP_1)
	v_add_f64_e32 v[24:25], v[22:23], v[12:13]
	v_add_f64_e64 v[6:7], v[24:25], -v[12:13]
	v_cmp_le_f64_e32 vcc_lo, 0.5, v[24:25]
	s_delay_alu instid0(VALU_DEP_2) | instskip(SKIP_2) | instid1(VALU_DEP_3)
	v_add_f64_e64 v[4:5], v[22:23], -v[6:7]
	v_cndmask_b32_e64 v41, 0, 0x3ff00000, vcc_lo
	v_add_co_ci_u32_e64 v70, null, 0, v11, vcc_lo
	v_add_f64_e32 v[2:3], v[2:3], v[4:5]
	s_delay_alu instid0(VALU_DEP_3) | instskip(NEXT) | instid1(VALU_DEP_1)
	v_add_f64_e64 v[4:5], v[24:25], -v[40:41]
	v_add_f64_e32 v[6:7], v[4:5], v[2:3]
	s_delay_alu instid0(VALU_DEP_1) | instskip(SKIP_1) | instid1(VALU_DEP_2)
	v_mul_f64_e32 v[12:13], 0x3ff921fb54442d18, v[6:7]
	v_add_f64_e64 v[4:5], v[6:7], -v[4:5]
	v_fma_f64 v[14:15], v[6:7], s[20:21], -v[12:13]
	s_delay_alu instid0(VALU_DEP_2) | instskip(NEXT) | instid1(VALU_DEP_2)
	v_add_f64_e64 v[2:3], v[2:3], -v[4:5]
	v_fmac_f64_e32 v[14:15], 0x3c91a62633145c07, v[6:7]
	s_delay_alu instid0(VALU_DEP_1) | instskip(NEXT) | instid1(VALU_DEP_1)
	v_fmac_f64_e32 v[14:15], 0x3ff921fb54442d18, v[2:3]
	v_add_f64_e32 v[6:7], v[12:13], v[14:15]
	s_delay_alu instid0(VALU_DEP_1) | instskip(NEXT) | instid1(VALU_DEP_1)
	v_add_f64_e64 v[2:3], v[6:7], -v[12:13]
	v_add_f64_e64 v[14:15], v[14:15], -v[2:3]
	s_and_not1_saveexec_b32 s0, s0
	s_cbranch_execnz .LBB1_155
	s_branch .LBB1_156
.LBB1_154:                              ;   in Loop: Header=BB1_79 Depth=1
	s_and_not1_saveexec_b32 s0, s0
	s_cbranch_execz .LBB1_156
.LBB1_155:                              ;   in Loop: Header=BB1_79 Depth=1
	s_delay_alu instid0(VALU_DEP_1) | instskip(SKIP_2) | instid1(VALU_DEP_2)
	v_fma_f64 v[2:3], v[44:45], s[24:25], |v[92:93]|
	v_mul_f64_e32 v[4:5], 0xbc91a62633145c00, v[44:45]
	v_cvt_i32_f64_e32 v70, v[44:45]
	v_add_f64_e32 v[6:7], v[2:3], v[4:5]
	s_delay_alu instid0(VALU_DEP_1) | instskip(SKIP_1) | instid1(VALU_DEP_1)
	v_add_f64_e64 v[12:13], v[2:3], -v[6:7]
	v_fmamk_f64 v[2:3], v[44:45], 0xbc91a62633145c00, v[2:3]
	v_add_f64_e64 v[6:7], v[6:7], -v[2:3]
	s_delay_alu instid0(VALU_DEP_3) | instskip(SKIP_1) | instid1(VALU_DEP_2)
	v_add_f64_e32 v[12:13], v[12:13], v[4:5]
	v_fmamk_f64 v[4:5], v[44:45], 0x3c91a62633145c00, v[4:5]
	v_add_f64_e32 v[6:7], v[6:7], v[12:13]
	s_delay_alu instid0(VALU_DEP_1) | instskip(NEXT) | instid1(VALU_DEP_1)
	v_add_f64_e64 v[4:5], v[6:7], -v[4:5]
	v_fmac_f64_e32 v[4:5], 0xb97b839a252049c0, v[44:45]
	s_delay_alu instid0(VALU_DEP_1) | instskip(NEXT) | instid1(VALU_DEP_1)
	v_add_f64_e32 v[6:7], v[2:3], v[4:5]
	v_add_f64_e64 v[2:3], v[6:7], -v[2:3]
	s_delay_alu instid0(VALU_DEP_1)
	v_add_f64_e64 v[14:15], v[4:5], -v[2:3]
.LBB1_156:                              ;   in Loop: Header=BB1_79 Depth=1
	s_or_b32 exec_lo, exec_lo, s0
	scratch_load_b64 v[2:3], off, off offset:200 ; 8-byte Folded Reload
	v_add_f64_e32 v[34:35], v[74:75], v[74:75]
	v_mul_f64_e32 v[36:37], v[74:75], v[74:75]
	v_mov_b64_e32 v[76:77], v[74:75]
                                        ; implicit-def: $vgpr64_vgpr65
                                        ; implicit-def: $vgpr66_vgpr67
	s_mov_b32 s0, exec_lo
	s_delay_alu instid0(VALU_DEP_3) | instskip(NEXT) | instid1(VALU_DEP_1)
	v_fma_f64 v[32:33], v[74:75], v[74:75], -v[34:35]
	v_add_f64_e32 v[54:55], v[8:9], v[32:33]
	s_wait_loadcnt 0x0
	v_cmpx_nlt_f64_e32 v[74:75], v[2:3]
	s_xor_b32 s1, exec_lo, s0
	s_cbranch_execz .LBB1_158
; %bb.157:                              ;   in Loop: Header=BB1_79 Depth=1
	v_mov_b64_e32 v[30:31], v[76:77]
	s_delay_alu instid0(VALU_DEP_1) | instskip(SKIP_1) | instid1(VALU_DEP_1)
	v_cmp_gt_f64_e32 vcc_lo, 0x10000000, v[30:31]
	v_cndmask_b32_e64 v2, 0, 0x100, vcc_lo
	v_ldexp_f64 v[2:3], v[30:31], v2
	s_delay_alu instid0(VALU_DEP_1) | instskip(SKIP_1) | instid1(TRANS32_DEP_1)
	v_rsq_f64_e32 v[4:5], v[2:3]
	v_nop
	v_mul_f64_e32 v[12:13], v[2:3], v[4:5]
	v_mul_f64_e32 v[4:5], 0.5, v[4:5]
	s_delay_alu instid0(VALU_DEP_1) | instskip(NEXT) | instid1(VALU_DEP_1)
	v_fma_f64 v[22:23], -v[4:5], v[12:13], 0.5
	v_fmac_f64_e32 v[12:13], v[12:13], v[22:23]
	v_fmac_f64_e32 v[4:5], v[4:5], v[22:23]
	s_delay_alu instid0(VALU_DEP_2) | instskip(NEXT) | instid1(VALU_DEP_1)
	v_fma_f64 v[22:23], -v[12:13], v[12:13], v[2:3]
	v_fmac_f64_e32 v[12:13], v[22:23], v[4:5]
	s_delay_alu instid0(VALU_DEP_1) | instskip(NEXT) | instid1(VALU_DEP_1)
	v_fma_f64 v[22:23], -v[12:13], v[12:13], v[2:3]
	v_fmac_f64_e32 v[12:13], v[22:23], v[4:5]
	v_cndmask_b32_e64 v4, 0, 0xffffff80, vcc_lo
	v_cmp_class_f64_e64 vcc_lo, v[2:3], 0x260
	s_delay_alu instid0(VALU_DEP_2) | instskip(SKIP_1) | instid1(VALU_DEP_2)
	v_ldexp_f64 v[4:5], v[12:13], v4
	v_fmamk_f64 v[12:13], v[30:31], 0xc0080000, v[36:37]
	v_dual_cndmask_b32 v3, v5, v3 :: v_dual_cndmask_b32 v2, v4, v2
	scratch_load_b64 v[4:5], off, off offset:192 ; 8-byte Folded Reload
	s_wait_loadcnt 0x0
	v_fmac_f64_e32 v[12:13], v[4:5], v[2:3]
	s_delay_alu instid0(VALU_DEP_1) | instskip(SKIP_2) | instid1(VALU_DEP_2)
	v_cmp_gt_f64_e32 vcc_lo, 0x10000000, v[12:13]
	v_cndmask_b32_e64 v4, 0, 0x100, vcc_lo
	v_cndmask_b32_e64 v11, 0, 0xffffff80, vcc_lo
	v_ldexp_f64 v[4:5], v[12:13], v4
	s_delay_alu instid0(VALU_DEP_1) | instskip(SKIP_1) | instid1(TRANS32_DEP_1)
	v_rsq_f64_e32 v[12:13], v[4:5]
	v_cmp_class_f64_e64 vcc_lo, v[4:5], 0x260
	v_mul_f64_e32 v[22:23], v[4:5], v[12:13]
	v_mul_f64_e32 v[12:13], 0.5, v[12:13]
	s_delay_alu instid0(VALU_DEP_1) | instskip(NEXT) | instid1(VALU_DEP_1)
	v_fma_f64 v[24:25], -v[12:13], v[22:23], 0.5
	v_fmac_f64_e32 v[22:23], v[22:23], v[24:25]
	v_fmac_f64_e32 v[12:13], v[12:13], v[24:25]
	s_delay_alu instid0(VALU_DEP_2) | instskip(NEXT) | instid1(VALU_DEP_1)
	v_fma_f64 v[24:25], -v[22:23], v[22:23], v[4:5]
	v_fmac_f64_e32 v[22:23], v[24:25], v[12:13]
	s_delay_alu instid0(VALU_DEP_1) | instskip(NEXT) | instid1(VALU_DEP_1)
	v_fma_f64 v[24:25], -v[22:23], v[22:23], v[4:5]
	v_fmac_f64_e32 v[22:23], v[24:25], v[12:13]
	s_delay_alu instid0(VALU_DEP_1) | instskip(NEXT) | instid1(VALU_DEP_1)
	v_ldexp_f64 v[12:13], v[22:23], v11
	v_dual_cndmask_b32 v5, v13, v5 :: v_dual_cndmask_b32 v4, v12, v4
	s_delay_alu instid0(VALU_DEP_1) | instskip(SKIP_2) | instid1(VALU_DEP_3)
	v_mul_f64_e32 v[12:13], v[2:3], v[4:5]
	v_fma_f64 v[2:3], s[8:9], v[2:3], v[36:37]
	v_mul_f64_e32 v[4:5], v[30:31], v[4:5]
	v_div_scale_f64 v[22:23], null, v[12:13], v[12:13], 1.0
	s_delay_alu instid0(VALU_DEP_2) | instskip(SKIP_1) | instid1(VALU_DEP_3)
	v_div_scale_f64 v[24:25], null, v[4:5], v[4:5], v[2:3]
	v_div_scale_f64 v[54:55], vcc_lo, 1.0, v[12:13], 1.0
	v_rcp_f64_e32 v[30:31], v[22:23]
	s_delay_alu instid0(VALU_DEP_2) | instskip(NEXT) | instid1(TRANS32_DEP_2)
	v_rcp_f64_e32 v[38:39], v[24:25]
	v_fma_f64 v[46:47], -v[22:23], v[30:31], 1.0
	s_delay_alu instid0(TRANS32_DEP_1) | instskip(NEXT) | instid1(VALU_DEP_2)
	v_fma_f64 v[48:49], -v[24:25], v[38:39], 1.0
	v_fmac_f64_e32 v[30:31], v[30:31], v[46:47]
	s_delay_alu instid0(VALU_DEP_2) | instskip(NEXT) | instid1(VALU_DEP_2)
	v_fmac_f64_e32 v[38:39], v[38:39], v[48:49]
	v_fma_f64 v[46:47], -v[22:23], v[30:31], 1.0
	s_delay_alu instid0(VALU_DEP_2) | instskip(NEXT) | instid1(VALU_DEP_2)
	v_fma_f64 v[48:49], -v[24:25], v[38:39], 1.0
	v_fmac_f64_e32 v[30:31], v[30:31], v[46:47]
	v_div_scale_f64 v[46:47], s0, v[2:3], v[4:5], v[2:3]
	s_delay_alu instid0(VALU_DEP_3) | instskip(NEXT) | instid1(VALU_DEP_3)
	v_fmac_f64_e32 v[38:39], v[38:39], v[48:49]
	v_mul_f64_e32 v[48:49], v[54:55], v[30:31]
	s_delay_alu instid0(VALU_DEP_2) | instskip(NEXT) | instid1(VALU_DEP_2)
	v_mul_f64_e32 v[58:59], v[46:47], v[38:39]
	v_fma_f64 v[22:23], -v[22:23], v[48:49], v[54:55]
	v_add_f64_e32 v[54:55], v[8:9], v[32:33]
	s_delay_alu instid0(VALU_DEP_3) | instskip(NEXT) | instid1(VALU_DEP_3)
	v_fma_f64 v[24:25], -v[24:25], v[58:59], v[46:47]
	v_div_fmas_f64 v[22:23], v[22:23], v[30:31], v[48:49]
	s_mov_b32 vcc_lo, s0
	s_delay_alu instid0(VALU_DEP_2) | instskip(NEXT) | instid1(VALU_DEP_2)
	v_div_fmas_f64 v[24:25], v[24:25], v[38:39], v[58:59]
	v_div_fixup_f64 v[66:67], v[22:23], v[12:13], 1.0
	s_delay_alu instid0(VALU_DEP_2)
	v_div_fixup_f64 v[64:65], v[24:25], v[4:5], v[2:3]
	s_wait_xcnt 0x0
	s_or_saveexec_b32 s54, s1
	v_mov_b64_e32 v[62:63], 0
	s_xor_b32 exec_lo, exec_lo, s54
	s_cbranch_execz .LBB1_160
	s_branch .LBB1_159
.LBB1_158:                              ;   in Loop: Header=BB1_79 Depth=1
	s_or_saveexec_b32 s54, s1
	v_mov_b64_e32 v[62:63], 0
	s_xor_b32 exec_lo, exec_lo, s54
	s_cbranch_execz .LBB1_160
.LBB1_159:                              ;   in Loop: Header=BB1_79 Depth=1
	s_clause 0x2
	scratch_load_b64 v[26:27], off, off offset:208
	scratch_load_b64 v[68:69], off, off offset:216
	;; [unrolled: 1-line block ×3, first 2 shown]
	v_mov_b64_e32 v[66:67], v[76:77]
	s_delay_alu instid0(VALU_DEP_1) | instskip(NEXT) | instid1(VALU_DEP_1)
	v_div_scale_f64 v[4:5], null, v[66:67], v[66:67], 2.0
	v_rcp_f64_e32 v[24:25], v[4:5]
	v_nop
	s_delay_alu instid0(TRANS32_DEP_1) | instskip(NEXT) | instid1(VALU_DEP_1)
	v_fma_f64 v[46:47], -v[4:5], v[24:25], 1.0
	v_fmac_f64_e32 v[24:25], v[24:25], v[46:47]
	s_delay_alu instid0(VALU_DEP_1) | instskip(NEXT) | instid1(VALU_DEP_1)
	v_fma_f64 v[46:47], -v[4:5], v[24:25], 1.0
	v_fmac_f64_e32 v[24:25], v[24:25], v[46:47]
	s_wait_loadcnt 0x2
	v_mul_f64_e32 v[2:3], s[8:9], v[26:27]
	s_wait_loadcnt 0x0
	v_div_scale_f64 v[12:13], null, v[66:67], v[66:67], v[64:65]
	v_div_scale_f64 v[46:47], s1, v[64:65], v[66:67], v[64:65]
	s_delay_alu instid0(VALU_DEP_3) | instskip(NEXT) | instid1(VALU_DEP_3)
	v_add_f64_e64 v[32:33], v[34:35], -v[2:3]
	v_rcp_f64_e32 v[30:31], v[12:13]
	s_delay_alu instid0(VALU_DEP_1) | instskip(SKIP_1) | instid1(TRANS32_DEP_1)
	v_div_scale_f64 v[2:3], null, v[54:55], v[54:55], v[32:33]
	v_div_scale_f64 v[58:59], vcc_lo, v[32:33], v[54:55], v[32:33]
	v_fma_f64 v[48:49], -v[12:13], v[30:31], 1.0
	s_delay_alu instid0(VALU_DEP_3) | instskip(NEXT) | instid1(VALU_DEP_1)
	v_rcp_f64_e32 v[22:23], v[2:3]
	v_fmac_f64_e32 v[30:31], v[30:31], v[48:49]
	s_delay_alu instid0(TRANS32_DEP_1) | instskip(NEXT) | instid1(VALU_DEP_2)
	v_fma_f64 v[38:39], -v[2:3], v[22:23], 1.0
	v_fma_f64 v[48:49], -v[12:13], v[30:31], 1.0
	s_delay_alu instid0(VALU_DEP_2) | instskip(NEXT) | instid1(VALU_DEP_2)
	v_fmac_f64_e32 v[22:23], v[22:23], v[38:39]
	v_fmac_f64_e32 v[30:31], v[30:31], v[48:49]
	s_delay_alu instid0(VALU_DEP_2) | instskip(NEXT) | instid1(VALU_DEP_2)
	v_fma_f64 v[38:39], -v[2:3], v[22:23], 1.0
	v_mul_f64_e32 v[62:63], v[46:47], v[30:31]
	s_delay_alu instid0(VALU_DEP_2) | instskip(SKIP_1) | instid1(VALU_DEP_3)
	v_fmac_f64_e32 v[22:23], v[22:23], v[38:39]
	v_div_scale_f64 v[38:39], s0, 2.0, v[66:67], 2.0
	v_fma_f64 v[12:13], -v[12:13], v[62:63], v[46:47]
	s_delay_alu instid0(VALU_DEP_3) | instskip(NEXT) | instid1(VALU_DEP_3)
	v_mul_f64_e32 v[48:49], v[58:59], v[22:23]
	v_mul_f64_e32 v[60:61], v[38:39], v[24:25]
	s_delay_alu instid0(VALU_DEP_2) | instskip(NEXT) | instid1(VALU_DEP_2)
	v_fma_f64 v[2:3], -v[2:3], v[48:49], v[58:59]
	v_fma_f64 v[4:5], -v[4:5], v[60:61], v[38:39]
	s_delay_alu instid0(VALU_DEP_2) | instskip(SKIP_1) | instid1(VALU_DEP_2)
	v_div_fmas_f64 v[46:47], v[2:3], v[22:23], v[48:49]
	s_mov_b32 vcc_lo, s0
	v_div_fmas_f64 v[38:39], v[4:5], v[24:25], v[60:61]
	s_mov_b32 vcc_lo, s1
	v_div_fmas_f64 v[2:3], v[12:13], v[30:31], v[62:63]
	s_delay_alu instid0(VALU_DEP_1) | instskip(NEXT) | instid1(VALU_DEP_1)
	v_div_fixup_f64 v[2:3], v[2:3], v[66:67], v[64:65]
	v_add_f64_e32 v[48:49], -1.0, v[2:3]
	s_delay_alu instid0(VALU_DEP_1) | instskip(SKIP_1) | instid1(VALU_DEP_2)
	v_frexp_mant_f64_e64 v[2:3], |v[48:49]|
	v_frexp_exp_i32_f64_e32 v11, v[48:49]
	v_cmp_gt_f64_e32 vcc_lo, s[14:15], v[2:3]
	v_cndmask_b32_e64 v4, 0, 1, vcc_lo
	s_delay_alu instid0(VALU_DEP_3) | instskip(SKIP_1) | instid1(VALU_DEP_3)
	v_subrev_co_ci_u32_e64 v11, null, 0, v11, vcc_lo
	v_cmp_eq_f64_e32 vcc_lo, 1.0, v[48:49]
	v_ldexp_f64 v[2:3], v[2:3], v4
	s_delay_alu instid0(VALU_DEP_1) | instskip(SKIP_1) | instid1(VALU_DEP_2)
	v_add_f64_e32 v[4:5], 1.0, v[2:3]
	v_add_f64_e32 v[24:25], -1.0, v[2:3]
	v_rcp_f64_e32 v[12:13], v[4:5]
	v_add_f64_e32 v[30:31], -1.0, v[4:5]
	s_delay_alu instid0(VALU_DEP_1) | instskip(NEXT) | instid1(TRANS32_DEP_1)
	v_add_f64_e64 v[2:3], v[2:3], -v[30:31]
	v_fma_f64 v[22:23], -v[4:5], v[12:13], 1.0
	s_delay_alu instid0(VALU_DEP_1) | instskip(NEXT) | instid1(VALU_DEP_1)
	v_fmac_f64_e32 v[12:13], v[22:23], v[12:13]
	v_fma_f64 v[22:23], -v[4:5], v[12:13], 1.0
	s_delay_alu instid0(VALU_DEP_1) | instskip(NEXT) | instid1(VALU_DEP_1)
	v_fmac_f64_e32 v[12:13], v[22:23], v[12:13]
	v_mul_f64_e32 v[22:23], v[24:25], v[12:13]
	s_delay_alu instid0(VALU_DEP_1) | instskip(NEXT) | instid1(VALU_DEP_1)
	v_mul_f64_e32 v[58:59], v[4:5], v[22:23]
	v_fma_f64 v[4:5], v[22:23], v[4:5], -v[58:59]
	s_delay_alu instid0(VALU_DEP_1) | instskip(NEXT) | instid1(VALU_DEP_1)
	v_fmac_f64_e32 v[4:5], v[22:23], v[2:3]
	v_add_f64_e32 v[2:3], v[58:59], v[4:5]
	s_delay_alu instid0(VALU_DEP_1) | instskip(SKIP_1) | instid1(VALU_DEP_2)
	v_add_f64_e64 v[30:31], v[24:25], -v[2:3]
	v_add_f64_e64 v[58:59], v[2:3], -v[58:59]
	;; [unrolled: 1-line block ×3, first 2 shown]
	s_delay_alu instid0(VALU_DEP_2) | instskip(NEXT) | instid1(VALU_DEP_2)
	v_add_f64_e64 v[4:5], v[58:59], -v[4:5]
	v_add_f64_e64 v[2:3], v[24:25], -v[2:3]
	s_delay_alu instid0(VALU_DEP_1) | instskip(NEXT) | instid1(VALU_DEP_1)
	v_add_f64_e32 v[2:3], v[4:5], v[2:3]
	v_add_f64_e32 v[2:3], v[30:31], v[2:3]
	v_mov_b64_e32 v[30:31], 0x3fba6564968915a9
	s_delay_alu instid0(VALU_DEP_2) | instskip(NEXT) | instid1(VALU_DEP_1)
	v_mul_f64_e32 v[2:3], v[12:13], v[2:3]
	v_add_f64_e32 v[4:5], v[22:23], v[2:3]
	s_delay_alu instid0(VALU_DEP_1) | instskip(SKIP_1) | instid1(VALU_DEP_2)
	v_add_f64_e64 v[12:13], v[4:5], -v[22:23]
	v_mul_f64_e32 v[22:23], v[4:5], v[4:5]
	v_add_f64_e64 v[2:3], v[2:3], -v[12:13]
	s_delay_alu instid0(VALU_DEP_2) | instskip(NEXT) | instid1(VALU_DEP_2)
	v_fma_f64 v[12:13], v[4:5], v[4:5], -v[22:23]
	v_add_f64_e32 v[24:25], v[2:3], v[2:3]
	s_delay_alu instid0(VALU_DEP_1) | instskip(NEXT) | instid1(VALU_DEP_1)
	v_fmac_f64_e32 v[12:13], v[4:5], v[24:25]
	v_add_f64_e32 v[24:25], v[22:23], v[12:13]
	s_delay_alu instid0(VALU_DEP_1) | instskip(SKIP_2) | instid1(VALU_DEP_3)
	v_fmamk_f64 v[30:31], v[24:25], 0x3fbdee674222de17, v[30:31]
	v_add_f64_e64 v[22:23], v[24:25], -v[22:23]
	v_mul_f64_e32 v[62:63], v[4:5], v[24:25]
	v_fmaak_f64 v[30:31], v[24:25], v[30:31], 0x3fbe25e43abe935a
	s_delay_alu instid0(VALU_DEP_1) | instskip(NEXT) | instid1(VALU_DEP_1)
	v_fmaak_f64 v[30:31], v[24:25], v[30:31], 0x3fc110ef47e6c9c2
	v_fmaak_f64 v[30:31], v[24:25], v[30:31], 0x3fc3b13bcfa74449
	s_delay_alu instid0(VALU_DEP_1) | instskip(SKIP_1) | instid1(VALU_DEP_2)
	v_fmaak_f64 v[30:31], v[24:25], v[30:31], 0x3fc745d171bf3c30
	v_add_f64_e64 v[12:13], v[12:13], -v[22:23]
	v_fmaak_f64 v[30:31], v[24:25], v[30:31], 0x3fcc71c71c7792ce
	s_delay_alu instid0(VALU_DEP_1) | instskip(NEXT) | instid1(VALU_DEP_1)
	v_fmaak_f64 v[30:31], v[24:25], v[30:31], 0x3fd24924924920da
	v_fmaak_f64 v[30:31], v[24:25], v[30:31], 0x3fd999999999999c
	s_delay_alu instid0(VALU_DEP_1) | instskip(NEXT) | instid1(VALU_DEP_1)
	v_mul_f64_e32 v[58:59], v[24:25], v[30:31]
	v_fma_f64 v[22:23], v[24:25], v[30:31], -v[58:59]
	s_delay_alu instid0(VALU_DEP_1) | instskip(NEXT) | instid1(VALU_DEP_1)
	v_fmac_f64_e32 v[22:23], v[12:13], v[30:31]
	v_add_f64_e32 v[30:31], v[58:59], v[22:23]
	s_delay_alu instid0(VALU_DEP_1) | instskip(SKIP_1) | instid1(VALU_DEP_2)
	v_add_f64_e32 v[60:61], 0x3fe5555555555555, v[30:31]
	v_add_f64_e64 v[58:59], v[30:31], -v[58:59]
	v_add_f64_e32 v[64:65], 0xbfe5555555555555, v[60:61]
	s_delay_alu instid0(VALU_DEP_2) | instskip(SKIP_1) | instid1(VALU_DEP_3)
	v_add_f64_e64 v[22:23], v[22:23], -v[58:59]
	v_fma_f64 v[58:59], v[24:25], v[4:5], -v[62:63]
	v_add_f64_e64 v[30:31], v[30:31], -v[64:65]
	s_delay_alu instid0(VALU_DEP_3) | instskip(NEXT) | instid1(VALU_DEP_3)
	v_add_f64_e32 v[22:23], 0x3c8543b0d5df274d, v[22:23]
	v_fmac_f64_e32 v[58:59], v[24:25], v[2:3]
	v_ldexp_f64 v[2:3], v[2:3], 1
	s_delay_alu instid0(VALU_DEP_3) | instskip(NEXT) | instid1(VALU_DEP_3)
	v_add_f64_e32 v[22:23], v[22:23], v[30:31]
	v_fmac_f64_e32 v[58:59], v[12:13], v[4:5]
	v_ldexp_f64 v[4:5], v[4:5], 1
	s_delay_alu instid0(VALU_DEP_3) | instskip(NEXT) | instid1(VALU_DEP_3)
	v_add_f64_e32 v[12:13], v[60:61], v[22:23]
	v_add_f64_e32 v[24:25], v[62:63], v[58:59]
	s_delay_alu instid0(VALU_DEP_2) | instskip(NEXT) | instid1(VALU_DEP_2)
	v_add_f64_e64 v[30:31], v[60:61], -v[12:13]
	v_mul_f64_e32 v[60:61], v[24:25], v[12:13]
	v_add_f64_e64 v[62:63], v[24:25], -v[62:63]
	s_delay_alu instid0(VALU_DEP_3) | instskip(NEXT) | instid1(VALU_DEP_3)
	v_add_f64_e32 v[22:23], v[22:23], v[30:31]
	v_fma_f64 v[30:31], v[24:25], v[12:13], -v[60:61]
	s_delay_alu instid0(VALU_DEP_3) | instskip(NEXT) | instid1(VALU_DEP_2)
	v_add_f64_e64 v[58:59], v[58:59], -v[62:63]
	v_fmac_f64_e32 v[30:31], v[24:25], v[22:23]
	v_cvt_f64_i32_e32 v[22:23], v11
	v_mov_b32_e32 v11, 0x3ff00000
	s_delay_alu instid0(VALU_DEP_1) | instskip(NEXT) | instid1(VALU_DEP_4)
	v_cndmask_b32_e32 v41, 0x40080000, v11, vcc_lo
	v_fmac_f64_e32 v[30:31], v[58:59], v[12:13]
	s_delay_alu instid0(VALU_DEP_1) | instskip(NEXT) | instid1(VALU_DEP_1)
	v_add_f64_e32 v[12:13], v[60:61], v[30:31]
	v_add_f64_e32 v[24:25], v[4:5], v[12:13]
	v_add_f64_e64 v[58:59], v[12:13], -v[60:61]
	v_mul_f64_e32 v[60:61], 0x3fe62e42fefa39ef, v[22:23]
	s_delay_alu instid0(VALU_DEP_3) | instskip(NEXT) | instid1(VALU_DEP_3)
	v_add_f64_e64 v[4:5], v[24:25], -v[4:5]
	v_add_f64_e64 v[30:31], v[30:31], -v[58:59]
	s_delay_alu instid0(VALU_DEP_3) | instskip(NEXT) | instid1(VALU_DEP_3)
	v_fma_f64 v[58:59], v[22:23], s[16:17], -v[60:61]
	v_add_f64_e64 v[4:5], v[12:13], -v[4:5]
	s_delay_alu instid0(VALU_DEP_3) | instskip(NEXT) | instid1(VALU_DEP_3)
	v_add_f64_e32 v[2:3], v[2:3], v[30:31]
	v_fmac_f64_e32 v[58:59], 0x3c7abc9e3b39803f, v[22:23]
	s_delay_alu instid0(VALU_DEP_2) | instskip(NEXT) | instid1(VALU_DEP_2)
	v_add_f64_e32 v[2:3], v[2:3], v[4:5]
	v_add_f64_e32 v[4:5], v[60:61], v[58:59]
	s_delay_alu instid0(VALU_DEP_2) | instskip(NEXT) | instid1(VALU_DEP_2)
	v_add_f64_e32 v[12:13], v[24:25], v[2:3]
	v_add_f64_e64 v[60:61], v[4:5], -v[60:61]
	s_delay_alu instid0(VALU_DEP_2) | instskip(SKIP_1) | instid1(VALU_DEP_3)
	v_add_f64_e32 v[22:23], v[4:5], v[12:13]
	v_add_f64_e64 v[24:25], v[12:13], -v[24:25]
	v_add_f64_e64 v[58:59], v[58:59], -v[60:61]
	v_div_scale_f64 v[60:61], null, v[66:67], v[66:67], v[68:69]
	s_delay_alu instid0(VALU_DEP_4) | instskip(NEXT) | instid1(VALU_DEP_4)
	v_add_f64_e64 v[30:31], v[22:23], -v[4:5]
	v_add_f64_e64 v[2:3], v[2:3], -v[24:25]
	s_delay_alu instid0(VALU_DEP_2) | instskip(SKIP_1) | instid1(VALU_DEP_3)
	v_add_f64_e64 v[62:63], v[22:23], -v[30:31]
	v_add_f64_e64 v[12:13], v[12:13], -v[30:31]
	v_add_f64_e32 v[24:25], v[58:59], v[2:3]
	s_delay_alu instid0(VALU_DEP_3) | instskip(SKIP_1) | instid1(VALU_DEP_1)
	v_add_f64_e64 v[4:5], v[4:5], -v[62:63]
	v_rcp_f64_e32 v[62:63], v[60:61]
	v_add_f64_e32 v[4:5], v[12:13], v[4:5]
	s_delay_alu instid0(VALU_DEP_3) | instskip(NEXT) | instid1(TRANS32_DEP_1)
	v_add_f64_e64 v[12:13], v[24:25], -v[58:59]
	v_fma_f64 v[64:65], -v[60:61], v[62:63], 1.0
	s_delay_alu instid0(VALU_DEP_3) | instskip(NEXT) | instid1(VALU_DEP_3)
	v_add_f64_e32 v[4:5], v[24:25], v[4:5]
	v_add_f64_e64 v[24:25], v[24:25], -v[12:13]
	v_add_f64_e64 v[2:3], v[2:3], -v[12:13]
	s_delay_alu instid0(VALU_DEP_4) | instskip(NEXT) | instid1(VALU_DEP_4)
	v_fmac_f64_e32 v[62:63], v[62:63], v[64:65]
	v_add_f64_e32 v[30:31], v[22:23], v[4:5]
	s_delay_alu instid0(VALU_DEP_4) | instskip(SKIP_1) | instid1(VALU_DEP_3)
	v_add_f64_e64 v[12:13], v[58:59], -v[24:25]
	v_mov_b64_e32 v[58:59], 0x3e928af3fca7ab0c
	v_add_f64_e64 v[22:23], v[30:31], -v[22:23]
	s_delay_alu instid0(VALU_DEP_3) | instskip(NEXT) | instid1(VALU_DEP_2)
	v_add_f64_e32 v[2:3], v[2:3], v[12:13]
	v_add_f64_e64 v[4:5], v[4:5], -v[22:23]
	s_delay_alu instid0(VALU_DEP_1) | instskip(NEXT) | instid1(VALU_DEP_1)
	v_add_f64_e32 v[2:3], v[2:3], v[4:5]
	v_add_f64_e32 v[4:5], v[30:31], v[2:3]
	s_delay_alu instid0(VALU_DEP_1) | instskip(SKIP_1) | instid1(VALU_DEP_2)
	v_add_f64_e64 v[12:13], v[4:5], -v[30:31]
	v_mul_f64_e32 v[22:23], v[40:41], v[4:5]
	v_add_f64_e64 v[2:3], v[2:3], -v[12:13]
	s_delay_alu instid0(VALU_DEP_2) | instskip(SKIP_1) | instid1(VALU_DEP_2)
	v_fma_f64 v[4:5], v[40:41], v[4:5], -v[22:23]
	v_cmp_class_f64_e64 vcc_lo, v[22:23], 0x204
	v_fmac_f64_e32 v[4:5], v[40:41], v[2:3]
	s_delay_alu instid0(VALU_DEP_1) | instskip(NEXT) | instid1(VALU_DEP_1)
	v_add_f64_e32 v[2:3], v[22:23], v[4:5]
	v_dual_cndmask_b32 v13, v3, v23 :: v_dual_cndmask_b32 v12, v2, v22
	v_add_f64_e64 v[2:3], v[2:3], -v[22:23]
	s_delay_alu instid0(VALU_DEP_2)
	v_mul_f64_e32 v[24:25], 0x3ff71547652b82fe, v[12:13]
	v_cmp_nlt_f64_e64 s0, 0x40900000, v[12:13]
	v_cmp_neq_f64_e64 vcc_lo, 0x7ff00000, |v[12:13]|
	v_cmp_ngt_f64_e64 s1, 0xc090cc00, v[12:13]
	v_add_f64_e64 v[2:3], v[4:5], -v[2:3]
	v_trunc_f64_e32 v[4:5], v[40:41]
	v_rndne_f64_e32 v[24:25], v[24:25]
	s_delay_alu instid0(VALU_DEP_3) | instskip(SKIP_1) | instid1(VALU_DEP_2)
	v_dual_cndmask_b32 v3, 0, v3 :: v_dual_cndmask_b32 v2, 0, v2
	s_and_b32 vcc_lo, s1, s0
	v_fmamk_f64 v[30:31], v[24:25], 0xbfe62e42fefa39ef, v[12:13]
	v_cvt_i32_f64_e32 v11, v[24:25]
	s_delay_alu instid0(VALU_DEP_2) | instskip(NEXT) | instid1(VALU_DEP_1)
	v_fmac_f64_e32 v[30:31], 0xbc7abc9e3b39803f, v[24:25]
	v_fmamk_f64 v[58:59], v[30:31], 0x3e5ade156a5dcb37, v[58:59]
	s_delay_alu instid0(VALU_DEP_1) | instskip(NEXT) | instid1(VALU_DEP_1)
	v_fmaak_f64 v[58:59], v[30:31], v[58:59], 0x3ec71dee623fde64
	v_fmaak_f64 v[58:59], v[30:31], v[58:59], 0x3efa01997c89e6b0
	s_delay_alu instid0(VALU_DEP_1) | instskip(NEXT) | instid1(VALU_DEP_1)
	v_fmaak_f64 v[58:59], v[30:31], v[58:59], 0x3f2a01a014761f6e
	v_fmaak_f64 v[58:59], v[30:31], v[58:59], 0x3f56c16c1852b7b0
	;; [unrolled: 3-line block ×4, first 2 shown]
	s_delay_alu instid0(VALU_DEP_1) | instskip(NEXT) | instid1(VALU_DEP_1)
	v_fma_f64 v[58:59], v[30:31], v[58:59], 1.0
	v_fma_f64 v[24:25], v[30:31], v[58:59], 1.0
	v_fma_f64 v[30:31], -v[60:61], v[62:63], 1.0
	v_div_scale_f64 v[58:59], s2, v[68:69], v[66:67], v[68:69]
	s_delay_alu instid0(VALU_DEP_3) | instskip(SKIP_1) | instid1(VALU_DEP_4)
	v_ldexp_f64 v[22:23], v[24:25], v11
	v_mul_f64_e32 v[24:25], 0.5, v[40:41]
	v_fmac_f64_e32 v[62:63], v[62:63], v[30:31]
	s_delay_alu instid0(VALU_DEP_3) | instskip(NEXT) | instid1(VALU_DEP_3)
	v_cndmask_b32_e64 v11, 0x7ff00000, v23, s0
	v_trunc_f64_e32 v[12:13], v[24:25]
	v_cndmask_b32_e32 v22, 0, v22, vcc_lo
	v_cmp_eq_f64_e32 vcc_lo, v[4:5], v[40:41]
	v_mul_f64_e32 v[4:5], v[58:59], v[62:63]
	v_cndmask_b32_e64 v23, 0, v11, s1
	s_delay_alu instid0(VALU_DEP_1) | instskip(SKIP_2) | instid1(VALU_DEP_2)
	v_fma_f64 v[2:3], v[22:23], v[2:3], v[22:23]
	v_cmp_class_f64_e64 s1, v[22:23], 0x204
	v_cmp_neq_f64_e64 s0, v[12:13], v[24:25]
	v_dual_cndmask_b32 v12, v2, v22, s1 :: v_dual_cndmask_b32 v2, v3, v23, s1
	v_cmp_gt_f64_e64 s1, 0, v[48:49]
	s_delay_alu instid0(VALU_DEP_2) | instskip(SKIP_1) | instid1(SALU_CYCLE_1)
	v_cndmask_b32_e32 v22, 0, v12, vcc_lo
	s_and_b32 s0, vcc_lo, s0
	v_cndmask_b32_e64 v11, 0x3ff00000, v49, s0
	s_delay_alu instid0(VALU_DEP_1) | instskip(SKIP_1) | instid1(VALU_DEP_2)
	v_bfi_b32 v11, 0x7fffffff, v2, v11
	v_fma_f64 v[2:3], -v[60:61], v[4:5], v[58:59]
	v_cndmask_b32_e32 v13, 0x7ff80000, v11, vcc_lo
	s_mov_b32 vcc_lo, s2
	s_delay_alu instid0(VALU_DEP_1)
	v_cndmask_b32_e64 v11, v11, v13, s1
	v_cmp_eq_f64_e64 s3, 0, v[48:49]
	v_cndmask_b32_e64 v24, 0, v49, s0
	v_cmp_class_f64_e64 s55, v[48:49], 0x204
	v_div_fixup_f64 v[32:33], v[46:47], v[54:55], v[32:33]
	v_div_fmas_f64 v[2:3], v[2:3], v[62:63], v[4:5]
	v_cndmask_b32_e64 v5, v12, v22, s1
	v_cndmask_b32_e64 v23, 0x7ff00000, 0, s3
	s_or_b32 vcc_lo, s3, s55
	s_delay_alu instid0(VALU_DEP_1) | instskip(NEXT) | instid1(VALU_DEP_1)
	v_bfi_b32 v4, 0x7fffffff, v23, v24
	v_cndmask_b32_e32 v11, v11, v4, vcc_lo
	v_cndmask_b32_e64 v4, v5, 0, vcc_lo
	v_cmp_o_f64_e32 vcc_lo, v[48:49], v[48:49]
	v_div_fixup_f64 v[2:3], v[2:3], v[66:67], v[68:69]
	s_delay_alu instid0(VALU_DEP_3) | instskip(SKIP_1) | instid1(VALU_DEP_1)
	v_cndmask_b32_e32 v4, 0, v4, vcc_lo
	v_cndmask_b32_e32 v5, 0x7ff80000, v11, vcc_lo
	v_cmp_gt_f64_e64 s0, 0x10000000, v[4:5]
	s_delay_alu instid0(VALU_DEP_4) | instskip(SKIP_1) | instid1(VALU_DEP_3)
	v_div_scale_f64 v[12:13], null, v[66:67], v[66:67], v[2:3]
	v_div_scale_f64 v[60:61], vcc_lo, v[2:3], v[66:67], v[2:3]
	v_cndmask_b32_e64 v11, 0, 0x100, s0
	s_delay_alu instid0(VALU_DEP_3) | instskip(NEXT) | instid1(VALU_DEP_1)
	v_rcp_f64_e32 v[24:25], v[12:13]
	v_ldexp_f64 v[4:5], v[4:5], v11
	v_cndmask_b32_e64 v11, 0, 0xffffff80, s0
	s_delay_alu instid0(VALU_DEP_2) | instskip(NEXT) | instid1(TRANS32_DEP_2)
	v_rsq_f64_e32 v[22:23], v[4:5]
	v_fma_f64 v[48:49], -v[12:13], v[24:25], 1.0
	s_delay_alu instid0(VALU_DEP_1) | instskip(NEXT) | instid1(TRANS32_DEP_1)
	v_fmac_f64_e32 v[24:25], v[24:25], v[48:49]
	v_mul_f64_e32 v[30:31], v[4:5], v[22:23]
	v_mul_f64_e32 v[22:23], 0.5, v[22:23]
	s_delay_alu instid0(VALU_DEP_3) | instskip(NEXT) | instid1(VALU_DEP_2)
	v_fma_f64 v[48:49], -v[12:13], v[24:25], 1.0
	v_fma_f64 v[58:59], -v[22:23], v[30:31], 0.5
	s_delay_alu instid0(VALU_DEP_2) | instskip(NEXT) | instid1(VALU_DEP_2)
	v_fmac_f64_e32 v[24:25], v[24:25], v[48:49]
	v_fmac_f64_e32 v[30:31], v[30:31], v[58:59]
	;; [unrolled: 1-line block ×3, first 2 shown]
	s_delay_alu instid0(VALU_DEP_3) | instskip(NEXT) | instid1(VALU_DEP_3)
	v_mul_f64_e32 v[48:49], v[60:61], v[24:25]
	v_fma_f64 v[58:59], -v[30:31], v[30:31], v[4:5]
	s_delay_alu instid0(VALU_DEP_2) | instskip(NEXT) | instid1(VALU_DEP_2)
	v_fma_f64 v[12:13], -v[12:13], v[48:49], v[60:61]
	v_fmac_f64_e32 v[30:31], v[58:59], v[22:23]
	s_delay_alu instid0(VALU_DEP_2) | instskip(SKIP_1) | instid1(VALU_DEP_3)
	v_div_fmas_f64 v[12:13], v[12:13], v[24:25], v[48:49]
	v_cmp_class_f64_e64 vcc_lo, v[4:5], 0x260
	v_fma_f64 v[58:59], -v[30:31], v[30:31], v[4:5]
	s_delay_alu instid0(VALU_DEP_3) | instskip(SKIP_4) | instid1(VALU_DEP_3)
	v_div_fixup_f64 v[2:3], v[12:13], v[66:67], v[2:3]
	scratch_load_b64 v[12:13], off, off offset:224 ; 8-byte Folded Reload
	v_fmac_f64_e32 v[30:31], v[58:59], v[22:23]
	v_div_fixup_f64 v[22:23], v[38:39], v[66:67], 2.0
	v_add_f64_e32 v[38:39], 1.0, v[32:33]
	v_ldexp_f64 v[24:25], v[30:31], v11
	v_fma_f64 v[30:31], s[8:9], v[32:33], v[26:27]
	s_delay_alu instid0(VALU_DEP_3) | instskip(NEXT) | instid1(VALU_DEP_3)
	v_fma_f64 v[22:23], v[22:23], v[38:39], 1.0
	v_dual_cndmask_b32 v5, v25, v5 :: v_dual_cndmask_b32 v4, v24, v4
	s_delay_alu instid0(VALU_DEP_2) | instskip(NEXT) | instid1(VALU_DEP_4)
	v_mul_f64_e32 v[64:65], v[68:69], v[22:23]
	v_mul_f64_e32 v[66:67], v[2:3], v[30:31]
	s_wait_loadcnt 0x0
	s_delay_alu instid0(VALU_DEP_3)
	v_mul_f64_e64 v[62:63], v[4:5], -v[12:13]
.LBB1_160:                              ;   in Loop: Header=BB1_79 Depth=1
	s_wait_xcnt 0x0
	s_or_b32 exec_lo, exec_lo, s54
                                        ; implicit-def: $vgpr32
                                        ; implicit-def: $vgpr48_vgpr49
                                        ; implicit-def: $vgpr68_vgpr69
	s_and_saveexec_b32 s0, s4
	s_delay_alu instid0(SALU_CYCLE_1)
	s_xor_b32 s0, exec_lo, s0
	s_cbranch_execz .LBB1_162
; %bb.161:                              ;   in Loop: Header=BB1_79 Depth=1
	v_cmp_le_f64_e64 vcc_lo, 0x7b000000, |v[92:93]|
	v_dual_cndmask_b32 v3, v50, v21 :: v_dual_cndmask_b32 v2, v92, v20
	s_delay_alu instid0(VALU_DEP_1) | instskip(SKIP_2) | instid1(VALU_DEP_3)
	v_mul_f64_e32 v[4:5], v[18:19], v[2:3]
	v_mul_f64_e32 v[12:13], v[16:17], v[2:3]
	;; [unrolled: 1-line block ×3, first 2 shown]
	v_fma_f64 v[22:23], v[18:19], v[2:3], -v[4:5]
	s_delay_alu instid0(VALU_DEP_3) | instskip(NEXT) | instid1(VALU_DEP_3)
	v_fma_f64 v[48:49], v[16:17], v[2:3], -v[12:13]
	v_fma_f64 v[2:3], v[0:1], v[2:3], -v[46:47]
	s_delay_alu instid0(VALU_DEP_3) | instskip(NEXT) | instid1(VALU_DEP_1)
	v_add_f64_e32 v[24:25], v[12:13], v[22:23]
	v_add_f64_e64 v[30:31], v[24:25], -v[12:13]
	v_add_f64_e32 v[38:39], v[4:5], v[24:25]
	s_delay_alu instid0(VALU_DEP_2) | instskip(SKIP_1) | instid1(VALU_DEP_3)
	v_add_f64_e64 v[32:33], v[24:25], -v[30:31]
	v_add_f64_e64 v[22:23], v[22:23], -v[30:31]
	v_ldexp_f64 v[30:31], v[38:39], -2
	s_delay_alu instid0(VALU_DEP_3) | instskip(SKIP_1) | instid1(VALU_DEP_3)
	v_add_f64_e64 v[12:13], v[12:13], -v[32:33]
	v_add_f64_e32 v[32:33], v[46:47], v[48:49]
	v_cmp_neq_f64_e64 vcc_lo, 0x7ff00000, |v[30:31]|
	s_delay_alu instid0(VALU_DEP_3) | instskip(SKIP_1) | instid1(VALU_DEP_1)
	v_add_f64_e32 v[12:13], v[22:23], v[12:13]
	v_fract_f64_e32 v[22:23], v[30:31]
	v_ldexp_f64 v[22:23], v[22:23], 2
	s_delay_alu instid0(VALU_DEP_1) | instskip(NEXT) | instid1(VALU_DEP_1)
	v_dual_add_f64 v[4:5], v[38:39], -v[4:5] :: v_dual_cndmask_b32 v22, 0, v22, vcc_lo
	v_dual_add_f64 v[4:5], v[24:25], -v[4:5] :: v_dual_cndmask_b32 v23, 0, v23, vcc_lo
	v_add_f64_e32 v[24:25], v[32:33], v[12:13]
	s_delay_alu instid0(VALU_DEP_1) | instskip(SKIP_1) | instid1(VALU_DEP_2)
	v_add_f64_e32 v[30:31], v[4:5], v[24:25]
	v_add_f64_e64 v[58:59], v[24:25], -v[32:33]
	v_add_f64_e32 v[38:39], v[30:31], v[22:23]
	s_delay_alu instid0(VALU_DEP_2) | instskip(SKIP_2) | instid1(VALU_DEP_4)
	v_add_f64_e64 v[72:73], v[24:25], -v[58:59]
	v_add_f64_e64 v[12:13], v[12:13], -v[58:59]
	;; [unrolled: 1-line block ×3, first 2 shown]
	v_cmp_gt_f64_e32 vcc_lo, 0, v[38:39]
	v_add_f64_e64 v[38:39], v[32:33], -v[46:47]
	s_delay_alu instid0(VALU_DEP_3) | instskip(SKIP_1) | instid1(VALU_DEP_3)
	v_add_f64_e64 v[4:5], v[24:25], -v[4:5]
	v_cndmask_b32_e64 v41, 0, 0x40100000, vcc_lo
	v_add_f64_e64 v[68:69], v[32:33], -v[38:39]
	v_add_f64_e64 v[38:39], v[48:49], -v[38:39]
	v_add_f64_e64 v[32:33], v[32:33], -v[72:73]
	s_delay_alu instid0(VALU_DEP_4) | instskip(NEXT) | instid1(VALU_DEP_4)
	v_add_f64_e32 v[22:23], v[22:23], v[40:41]
	v_add_f64_e64 v[48:49], v[46:47], -v[68:69]
	s_delay_alu instid0(VALU_DEP_3) | instskip(NEXT) | instid1(VALU_DEP_3)
	v_add_f64_e32 v[12:13], v[12:13], v[32:33]
	v_add_f64_e32 v[60:61], v[30:31], v[22:23]
	s_delay_alu instid0(VALU_DEP_3) | instskip(NEXT) | instid1(VALU_DEP_2)
	v_add_f64_e32 v[38:39], v[38:39], v[48:49]
	v_cvt_i32_f64_e32 v11, v[60:61]
	s_delay_alu instid0(VALU_DEP_2) | instskip(NEXT) | instid1(VALU_DEP_2)
	v_add_f64_e32 v[12:13], v[38:39], v[12:13]
	v_cvt_f64_i32_e32 v[58:59], v11
	s_delay_alu instid0(VALU_DEP_2) | instskip(NEXT) | instid1(VALU_DEP_2)
	v_add_f64_e32 v[2:3], v[2:3], v[12:13]
	v_add_f64_e64 v[22:23], v[22:23], -v[58:59]
	s_delay_alu instid0(VALU_DEP_2) | instskip(NEXT) | instid1(VALU_DEP_2)
	v_add_f64_e32 v[2:3], v[4:5], v[2:3]
	v_add_f64_e32 v[38:39], v[30:31], v[22:23]
	s_delay_alu instid0(VALU_DEP_1) | instskip(SKIP_1) | instid1(VALU_DEP_2)
	v_add_f64_e64 v[12:13], v[38:39], -v[22:23]
	v_cmp_le_f64_e32 vcc_lo, 0.5, v[38:39]
	v_add_f64_e64 v[4:5], v[30:31], -v[12:13]
	v_cndmask_b32_e64 v41, 0, 0x3ff00000, vcc_lo
	v_add_co_ci_u32_e64 v32, null, 0, v11, vcc_lo
	s_delay_alu instid0(VALU_DEP_3) | instskip(NEXT) | instid1(VALU_DEP_3)
	v_add_f64_e32 v[2:3], v[2:3], v[4:5]
	v_add_f64_e64 v[4:5], v[38:39], -v[40:41]
	s_delay_alu instid0(VALU_DEP_1) | instskip(NEXT) | instid1(VALU_DEP_1)
	v_add_f64_e32 v[12:13], v[4:5], v[2:3]
	v_mul_f64_e32 v[22:23], 0x3ff921fb54442d18, v[12:13]
	v_add_f64_e64 v[4:5], v[12:13], -v[4:5]
	s_delay_alu instid0(VALU_DEP_2) | instskip(NEXT) | instid1(VALU_DEP_2)
	v_fma_f64 v[24:25], v[12:13], s[20:21], -v[22:23]
	v_add_f64_e64 v[2:3], v[2:3], -v[4:5]
	s_delay_alu instid0(VALU_DEP_2) | instskip(NEXT) | instid1(VALU_DEP_1)
	v_fmac_f64_e32 v[24:25], 0x3c91a62633145c07, v[12:13]
	v_fmac_f64_e32 v[24:25], 0x3ff921fb54442d18, v[2:3]
	s_delay_alu instid0(VALU_DEP_1) | instskip(NEXT) | instid1(VALU_DEP_1)
	v_add_f64_e32 v[48:49], v[22:23], v[24:25]
	v_add_f64_e64 v[2:3], v[48:49], -v[22:23]
	s_delay_alu instid0(VALU_DEP_1)
	v_add_f64_e64 v[68:69], v[24:25], -v[2:3]
	s_and_not1_saveexec_b32 s0, s0
	s_cbranch_execz .LBB1_164
	s_branch .LBB1_163
.LBB1_162:                              ;   in Loop: Header=BB1_79 Depth=1
	s_and_not1_saveexec_b32 s0, s0
	s_cbranch_execz .LBB1_164
.LBB1_163:                              ;   in Loop: Header=BB1_79 Depth=1
	v_fma_f64 v[2:3], v[44:45], s[24:25], |v[92:93]|
	v_mul_f64_e32 v[4:5], 0xbc91a62633145c00, v[44:45]
	v_cvt_i32_f64_e32 v32, v[44:45]
	s_delay_alu instid0(VALU_DEP_2) | instskip(NEXT) | instid1(VALU_DEP_1)
	v_add_f64_e32 v[12:13], v[2:3], v[4:5]
	v_add_f64_e64 v[22:23], v[2:3], -v[12:13]
	v_fmamk_f64 v[2:3], v[44:45], 0xbc91a62633145c00, v[2:3]
	s_delay_alu instid0(VALU_DEP_1) | instskip(NEXT) | instid1(VALU_DEP_3)
	v_add_f64_e64 v[12:13], v[12:13], -v[2:3]
	v_add_f64_e32 v[22:23], v[22:23], v[4:5]
	v_fmamk_f64 v[4:5], v[44:45], 0x3c91a62633145c00, v[4:5]
	s_delay_alu instid0(VALU_DEP_2) | instskip(NEXT) | instid1(VALU_DEP_1)
	v_add_f64_e32 v[12:13], v[12:13], v[22:23]
	v_add_f64_e64 v[4:5], v[12:13], -v[4:5]
	s_delay_alu instid0(VALU_DEP_1) | instskip(NEXT) | instid1(VALU_DEP_1)
	v_fmac_f64_e32 v[4:5], 0xb97b839a252049c0, v[44:45]
	v_add_f64_e32 v[48:49], v[2:3], v[4:5]
	s_delay_alu instid0(VALU_DEP_1) | instskip(NEXT) | instid1(VALU_DEP_1)
	v_add_f64_e64 v[2:3], v[48:49], -v[2:3]
	v_add_f64_e64 v[68:69], v[4:5], -v[2:3]
.LBB1_164:                              ;   in Loop: Header=BB1_79 Depth=1
	s_or_b32 exec_lo, exec_lo, s0
                                        ; implicit-def: $vgpr11
                                        ; implicit-def: $vgpr38_vgpr39
                                        ; implicit-def: $vgpr46_vgpr47
	s_and_saveexec_b32 s0, s4
	s_delay_alu instid0(SALU_CYCLE_1)
	s_xor_b32 s0, exec_lo, s0
	s_cbranch_execz .LBB1_166
; %bb.165:                              ;   in Loop: Header=BB1_79 Depth=1
	v_cmp_le_f64_e64 vcc_lo, 0x7b000000, |v[92:93]|
	v_dual_cndmask_b32 v3, v50, v21 :: v_dual_cndmask_b32 v2, v92, v20
	s_delay_alu instid0(VALU_DEP_1) | instskip(SKIP_2) | instid1(VALU_DEP_3)
	v_mul_f64_e32 v[4:5], v[18:19], v[2:3]
	v_mul_f64_e32 v[12:13], v[16:17], v[2:3]
	v_mul_f64_e32 v[38:39], v[0:1], v[2:3]
	v_fma_f64 v[18:19], v[18:19], v[2:3], -v[4:5]
	s_delay_alu instid0(VALU_DEP_3) | instskip(NEXT) | instid1(VALU_DEP_3)
	v_fma_f64 v[16:17], v[16:17], v[2:3], -v[12:13]
	v_fma_f64 v[0:1], v[0:1], v[2:3], -v[38:39]
	s_delay_alu instid0(VALU_DEP_3) | instskip(NEXT) | instid1(VALU_DEP_1)
	v_add_f64_e32 v[20:21], v[12:13], v[18:19]
	v_add_f64_e64 v[22:23], v[20:21], -v[12:13]
	v_add_f64_e32 v[30:31], v[4:5], v[20:21]
	s_delay_alu instid0(VALU_DEP_2) | instskip(SKIP_1) | instid1(VALU_DEP_3)
	v_add_f64_e64 v[24:25], v[20:21], -v[22:23]
	v_add_f64_e64 v[18:19], v[18:19], -v[22:23]
	v_ldexp_f64 v[22:23], v[30:31], -2
	s_delay_alu instid0(VALU_DEP_3) | instskip(SKIP_1) | instid1(VALU_DEP_3)
	v_add_f64_e64 v[12:13], v[12:13], -v[24:25]
	v_add_f64_e32 v[24:25], v[38:39], v[16:17]
	v_cmp_neq_f64_e64 vcc_lo, 0x7ff00000, |v[22:23]|
	s_delay_alu instid0(VALU_DEP_3) | instskip(SKIP_1) | instid1(VALU_DEP_1)
	v_add_f64_e32 v[12:13], v[18:19], v[12:13]
	v_fract_f64_e32 v[18:19], v[22:23]
	v_ldexp_f64 v[18:19], v[18:19], 2
	s_delay_alu instid0(VALU_DEP_1) | instskip(NEXT) | instid1(VALU_DEP_1)
	v_dual_add_f64 v[4:5], v[30:31], -v[4:5] :: v_dual_cndmask_b32 v18, 0, v18, vcc_lo
	v_dual_add_f64 v[4:5], v[20:21], -v[4:5] :: v_dual_cndmask_b32 v19, 0, v19, vcc_lo
	v_add_f64_e32 v[20:21], v[24:25], v[12:13]
	s_delay_alu instid0(VALU_DEP_1) | instskip(SKIP_1) | instid1(VALU_DEP_2)
	v_add_f64_e32 v[22:23], v[4:5], v[20:21]
	v_add_f64_e64 v[44:45], v[20:21], -v[24:25]
	v_add_f64_e32 v[30:31], v[22:23], v[18:19]
	s_delay_alu instid0(VALU_DEP_2) | instskip(SKIP_2) | instid1(VALU_DEP_4)
	v_add_f64_e64 v[58:59], v[20:21], -v[44:45]
	v_add_f64_e64 v[12:13], v[12:13], -v[44:45]
	;; [unrolled: 1-line block ×3, first 2 shown]
	v_cmp_gt_f64_e32 vcc_lo, 0, v[30:31]
	v_add_f64_e64 v[30:31], v[24:25], -v[38:39]
	s_delay_alu instid0(VALU_DEP_3) | instskip(SKIP_1) | instid1(VALU_DEP_3)
	v_add_f64_e64 v[2:3], v[20:21], -v[2:3]
	v_cndmask_b32_e64 v41, 0, 0x40100000, vcc_lo
	v_add_f64_e64 v[50:51], v[24:25], -v[30:31]
	v_add_f64_e64 v[16:17], v[16:17], -v[30:31]
	;; [unrolled: 1-line block ×3, first 2 shown]
	s_delay_alu instid0(VALU_DEP_4) | instskip(NEXT) | instid1(VALU_DEP_4)
	v_add_f64_e32 v[18:19], v[18:19], v[40:41]
	v_add_f64_e64 v[30:31], v[38:39], -v[50:51]
	s_delay_alu instid0(VALU_DEP_3) | instskip(NEXT) | instid1(VALU_DEP_3)
	v_add_f64_e32 v[12:13], v[12:13], v[24:25]
	v_add_f64_e32 v[46:47], v[22:23], v[18:19]
	s_delay_alu instid0(VALU_DEP_3) | instskip(NEXT) | instid1(VALU_DEP_2)
	v_add_f64_e32 v[16:17], v[16:17], v[30:31]
	v_cvt_i32_f64_e32 v11, v[46:47]
	s_delay_alu instid0(VALU_DEP_2) | instskip(NEXT) | instid1(VALU_DEP_2)
	v_add_f64_e32 v[4:5], v[16:17], v[12:13]
	v_cvt_f64_i32_e32 v[44:45], v11
	s_delay_alu instid0(VALU_DEP_2) | instskip(NEXT) | instid1(VALU_DEP_2)
	v_add_f64_e32 v[0:1], v[0:1], v[4:5]
	v_add_f64_e64 v[18:19], v[18:19], -v[44:45]
                                        ; implicit-def: $vgpr44_vgpr45
	s_delay_alu instid0(VALU_DEP_2) | instskip(NEXT) | instid1(VALU_DEP_2)
	v_add_f64_e32 v[0:1], v[2:3], v[0:1]
	v_add_f64_e32 v[12:13], v[22:23], v[18:19]
	s_delay_alu instid0(VALU_DEP_1) | instskip(SKIP_1) | instid1(VALU_DEP_2)
	v_add_f64_e64 v[4:5], v[12:13], -v[18:19]
	v_cmp_le_f64_e32 vcc_lo, 0.5, v[12:13]
	v_add_f64_e64 v[2:3], v[22:23], -v[4:5]
	v_cndmask_b32_e64 v41, 0, 0x3ff00000, vcc_lo
	v_add_co_ci_u32_e64 v11, null, 0, v11, vcc_lo
	s_delay_alu instid0(VALU_DEP_3) | instskip(NEXT) | instid1(VALU_DEP_3)
	v_add_f64_e32 v[0:1], v[0:1], v[2:3]
	v_add_f64_e64 v[2:3], v[12:13], -v[40:41]
	s_delay_alu instid0(VALU_DEP_1) | instskip(NEXT) | instid1(VALU_DEP_1)
	v_add_f64_e32 v[4:5], v[2:3], v[0:1]
	v_mul_f64_e32 v[12:13], 0x3ff921fb54442d18, v[4:5]
	v_add_f64_e64 v[2:3], v[4:5], -v[2:3]
	s_delay_alu instid0(VALU_DEP_2) | instskip(NEXT) | instid1(VALU_DEP_2)
	v_fma_f64 v[16:17], v[4:5], s[20:21], -v[12:13]
	v_add_f64_e64 v[0:1], v[0:1], -v[2:3]
	s_delay_alu instid0(VALU_DEP_2) | instskip(NEXT) | instid1(VALU_DEP_1)
	v_fmac_f64_e32 v[16:17], 0x3c91a62633145c07, v[4:5]
	v_fmac_f64_e32 v[16:17], 0x3ff921fb54442d18, v[0:1]
	s_delay_alu instid0(VALU_DEP_1) | instskip(NEXT) | instid1(VALU_DEP_1)
	v_add_f64_e32 v[38:39], v[12:13], v[16:17]
	v_add_f64_e64 v[0:1], v[38:39], -v[12:13]
	s_delay_alu instid0(VALU_DEP_1)
	v_add_f64_e64 v[46:47], v[16:17], -v[0:1]
	s_and_not1_saveexec_b32 s0, s0
	s_cbranch_execnz .LBB1_167
	s_branch .LBB1_168
.LBB1_166:                              ;   in Loop: Header=BB1_79 Depth=1
	s_and_not1_saveexec_b32 s0, s0
	s_cbranch_execz .LBB1_168
.LBB1_167:                              ;   in Loop: Header=BB1_79 Depth=1
	v_fma_f64 v[0:1], v[44:45], s[24:25], |v[92:93]|
	v_mul_f64_e32 v[2:3], 0xbc91a62633145c00, v[44:45]
	v_cvt_i32_f64_e32 v11, v[44:45]
	s_delay_alu instid0(VALU_DEP_2) | instskip(NEXT) | instid1(VALU_DEP_1)
	v_add_f64_e32 v[4:5], v[0:1], v[2:3]
	v_add_f64_e64 v[12:13], v[0:1], -v[4:5]
	v_fmamk_f64 v[0:1], v[44:45], 0xbc91a62633145c00, v[0:1]
	s_delay_alu instid0(VALU_DEP_1) | instskip(NEXT) | instid1(VALU_DEP_3)
	v_add_f64_e64 v[4:5], v[4:5], -v[0:1]
	v_add_f64_e32 v[12:13], v[12:13], v[2:3]
	v_fmamk_f64 v[2:3], v[44:45], 0x3c91a62633145c00, v[2:3]
	s_delay_alu instid0(VALU_DEP_2) | instskip(NEXT) | instid1(VALU_DEP_1)
	v_add_f64_e32 v[4:5], v[4:5], v[12:13]
	v_add_f64_e64 v[2:3], v[4:5], -v[2:3]
	s_delay_alu instid0(VALU_DEP_1) | instskip(NEXT) | instid1(VALU_DEP_1)
	v_fmac_f64_e32 v[2:3], 0xb97b839a252049c0, v[44:45]
	v_add_f64_e32 v[38:39], v[0:1], v[2:3]
	s_delay_alu instid0(VALU_DEP_1) | instskip(NEXT) | instid1(VALU_DEP_1)
	v_add_f64_e64 v[0:1], v[38:39], -v[0:1]
	v_add_f64_e64 v[46:47], v[2:3], -v[0:1]
.LBB1_168:                              ;   in Loop: Header=BB1_79 Depth=1
	s_or_b32 exec_lo, exec_lo, s0
	v_mov_b64_e32 v[44:45], v[76:77]
                                        ; implicit-def: $vgpr60_vgpr61
	s_delay_alu instid0(VALU_DEP_1) | instskip(SKIP_2) | instid1(VALU_DEP_3)
	v_frexp_mant_f64_e64 v[0:1], |v[44:45]|
	v_cmp_eq_f64_e64 s3, 1.0, v[44:45]
	v_cmp_class_f64_e64 s4, v[44:45], 0x204
	v_cmp_gt_f64_e32 vcc_lo, s[14:15], v[0:1]
	v_cndmask_b32_e64 v2, 0, 1, vcc_lo
	s_delay_alu instid0(VALU_DEP_1) | instskip(NEXT) | instid1(VALU_DEP_1)
	v_ldexp_f64 v[0:1], v[0:1], v2
	v_add_f64_e32 v[2:3], 1.0, v[0:1]
	v_add_f64_e32 v[16:17], -1.0, v[0:1]
	s_delay_alu instid0(VALU_DEP_2) | instskip(SKIP_1) | instid1(VALU_DEP_1)
	v_rcp_f64_e32 v[4:5], v[2:3]
	v_add_f64_e32 v[18:19], -1.0, v[2:3]
	v_add_f64_e64 v[0:1], v[0:1], -v[18:19]
	s_delay_alu instid0(TRANS32_DEP_1) | instskip(NEXT) | instid1(VALU_DEP_1)
	v_fma_f64 v[12:13], -v[2:3], v[4:5], 1.0
	v_fmac_f64_e32 v[4:5], v[12:13], v[4:5]
	s_delay_alu instid0(VALU_DEP_1) | instskip(NEXT) | instid1(VALU_DEP_1)
	v_fma_f64 v[12:13], -v[2:3], v[4:5], 1.0
	v_fmac_f64_e32 v[4:5], v[12:13], v[4:5]
	s_delay_alu instid0(VALU_DEP_1) | instskip(NEXT) | instid1(VALU_DEP_1)
	v_mul_f64_e32 v[12:13], v[16:17], v[4:5]
	v_mul_f64_e32 v[20:21], v[2:3], v[12:13]
	s_delay_alu instid0(VALU_DEP_1) | instskip(NEXT) | instid1(VALU_DEP_1)
	v_fma_f64 v[2:3], v[12:13], v[2:3], -v[20:21]
	v_fmac_f64_e32 v[2:3], v[12:13], v[0:1]
	s_delay_alu instid0(VALU_DEP_1) | instskip(NEXT) | instid1(VALU_DEP_1)
	v_add_f64_e32 v[0:1], v[20:21], v[2:3]
	v_add_f64_e64 v[18:19], v[16:17], -v[0:1]
	v_add_f64_e64 v[20:21], v[0:1], -v[20:21]
	s_delay_alu instid0(VALU_DEP_2) | instskip(NEXT) | instid1(VALU_DEP_2)
	v_add_f64_e64 v[16:17], v[16:17], -v[18:19]
	v_add_f64_e64 v[2:3], v[20:21], -v[2:3]
	s_delay_alu instid0(VALU_DEP_2) | instskip(NEXT) | instid1(VALU_DEP_1)
	v_add_f64_e64 v[0:1], v[16:17], -v[0:1]
	v_add_f64_e32 v[0:1], v[2:3], v[0:1]
	s_delay_alu instid0(VALU_DEP_1) | instskip(SKIP_1) | instid1(VALU_DEP_2)
	v_add_f64_e32 v[0:1], v[18:19], v[0:1]
	v_mov_b64_e32 v[18:19], 0x3fba6564968915a9
	v_mul_f64_e32 v[0:1], v[4:5], v[0:1]
	s_delay_alu instid0(VALU_DEP_1) | instskip(NEXT) | instid1(VALU_DEP_1)
	v_add_f64_e32 v[2:3], v[12:13], v[0:1]
	v_add_f64_e64 v[4:5], v[2:3], -v[12:13]
	v_mul_f64_e32 v[12:13], v[2:3], v[2:3]
	s_delay_alu instid0(VALU_DEP_2) | instskip(NEXT) | instid1(VALU_DEP_2)
	v_add_f64_e64 v[0:1], v[0:1], -v[4:5]
	v_fma_f64 v[4:5], v[2:3], v[2:3], -v[12:13]
	s_delay_alu instid0(VALU_DEP_2) | instskip(NEXT) | instid1(VALU_DEP_1)
	v_add_f64_e32 v[16:17], v[0:1], v[0:1]
	v_fmac_f64_e32 v[4:5], v[2:3], v[16:17]
	s_delay_alu instid0(VALU_DEP_1) | instskip(NEXT) | instid1(VALU_DEP_1)
	v_add_f64_e32 v[16:17], v[12:13], v[4:5]
	v_fmamk_f64 v[18:19], v[16:17], 0x3fbdee674222de17, v[18:19]
	v_add_f64_e64 v[12:13], v[16:17], -v[12:13]
	v_mul_f64_e32 v[24:25], v[2:3], v[16:17]
	s_delay_alu instid0(VALU_DEP_3) | instskip(NEXT) | instid1(VALU_DEP_1)
	v_fmaak_f64 v[18:19], v[16:17], v[18:19], 0x3fbe25e43abe935a
	v_fmaak_f64 v[18:19], v[16:17], v[18:19], 0x3fc110ef47e6c9c2
	s_delay_alu instid0(VALU_DEP_1) | instskip(NEXT) | instid1(VALU_DEP_1)
	v_fmaak_f64 v[18:19], v[16:17], v[18:19], 0x3fc3b13bcfa74449
	v_fmaak_f64 v[18:19], v[16:17], v[18:19], 0x3fc745d171bf3c30
	v_add_f64_e64 v[4:5], v[4:5], -v[12:13]
	s_delay_alu instid0(VALU_DEP_2) | instskip(NEXT) | instid1(VALU_DEP_1)
	v_fmaak_f64 v[18:19], v[16:17], v[18:19], 0x3fcc71c71c7792ce
	v_fmaak_f64 v[18:19], v[16:17], v[18:19], 0x3fd24924924920da
	s_delay_alu instid0(VALU_DEP_1) | instskip(NEXT) | instid1(VALU_DEP_1)
	v_fmaak_f64 v[18:19], v[16:17], v[18:19], 0x3fd999999999999c
	v_mul_f64_e32 v[20:21], v[16:17], v[18:19]
	s_delay_alu instid0(VALU_DEP_1) | instskip(NEXT) | instid1(VALU_DEP_1)
	v_fma_f64 v[12:13], v[16:17], v[18:19], -v[20:21]
	v_fmac_f64_e32 v[12:13], v[4:5], v[18:19]
	s_delay_alu instid0(VALU_DEP_1) | instskip(NEXT) | instid1(VALU_DEP_1)
	v_add_f64_e32 v[18:19], v[20:21], v[12:13]
	v_add_f64_e32 v[22:23], 0x3fe5555555555555, v[18:19]
	v_add_f64_e64 v[20:21], v[18:19], -v[20:21]
	s_delay_alu instid0(VALU_DEP_2) | instskip(NEXT) | instid1(VALU_DEP_2)
	v_add_f64_e32 v[30:31], 0xbfe5555555555555, v[22:23]
	v_add_f64_e64 v[12:13], v[12:13], -v[20:21]
	v_fma_f64 v[20:21], v[16:17], v[2:3], -v[24:25]
	s_delay_alu instid0(VALU_DEP_3) | instskip(NEXT) | instid1(VALU_DEP_3)
	v_add_f64_e64 v[18:19], v[18:19], -v[30:31]
	v_add_f64_e32 v[12:13], 0x3c8543b0d5df274d, v[12:13]
	s_delay_alu instid0(VALU_DEP_3) | instskip(SKIP_2) | instid1(VALU_DEP_4)
	v_fmac_f64_e32 v[20:21], v[16:17], v[0:1]
	v_ldexp_f64 v[0:1], v[0:1], 1
	v_mov_b64_e32 v[30:31], 0x3e928af3fca7ab0c
	v_add_f64_e32 v[12:13], v[12:13], v[18:19]
	s_delay_alu instid0(VALU_DEP_4) | instskip(SKIP_1) | instid1(VALU_DEP_3)
	v_fmac_f64_e32 v[20:21], v[4:5], v[2:3]
	v_ldexp_f64 v[2:3], v[2:3], 1
	v_add_f64_e32 v[4:5], v[22:23], v[12:13]
	s_delay_alu instid0(VALU_DEP_3) | instskip(NEXT) | instid1(VALU_DEP_2)
	v_add_f64_e32 v[16:17], v[24:25], v[20:21]
	v_add_f64_e64 v[18:19], v[22:23], -v[4:5]
	s_delay_alu instid0(VALU_DEP_2) | instskip(SKIP_1) | instid1(VALU_DEP_3)
	v_mul_f64_e32 v[22:23], v[16:17], v[4:5]
	v_add_f64_e64 v[24:25], v[16:17], -v[24:25]
	v_add_f64_e32 v[12:13], v[12:13], v[18:19]
	s_delay_alu instid0(VALU_DEP_3) | instskip(NEXT) | instid1(VALU_DEP_3)
	v_fma_f64 v[18:19], v[16:17], v[4:5], -v[22:23]
	v_add_f64_e64 v[20:21], v[20:21], -v[24:25]
	s_delay_alu instid0(VALU_DEP_2) | instskip(SKIP_1) | instid1(VALU_DEP_2)
	v_fmac_f64_e32 v[18:19], v[16:17], v[12:13]
	v_frexp_exp_i32_f64_e32 v12, v[44:45]
	v_fmac_f64_e32 v[18:19], v[20:21], v[4:5]
	s_delay_alu instid0(VALU_DEP_2) | instskip(NEXT) | instid1(VALU_DEP_1)
	v_subrev_co_ci_u32_e64 v12, null, 0, v12, vcc_lo
	v_cvt_f64_i32_e32 v[12:13], v12
	s_delay_alu instid0(VALU_DEP_3) | instskip(NEXT) | instid1(VALU_DEP_1)
	v_add_f64_e32 v[4:5], v[22:23], v[18:19]
	v_add_f64_e32 v[16:17], v[2:3], v[4:5]
	v_add_f64_e64 v[20:21], v[4:5], -v[22:23]
	s_delay_alu instid0(VALU_DEP_4) | instskip(NEXT) | instid1(VALU_DEP_3)
	v_mul_f64_e32 v[22:23], 0x3fe62e42fefa39ef, v[12:13]
	v_add_f64_e64 v[2:3], v[16:17], -v[2:3]
	s_delay_alu instid0(VALU_DEP_3) | instskip(NEXT) | instid1(VALU_DEP_3)
	v_add_f64_e64 v[18:19], v[18:19], -v[20:21]
	v_fma_f64 v[20:21], v[12:13], s[16:17], -v[22:23]
	s_delay_alu instid0(VALU_DEP_3) | instskip(NEXT) | instid1(VALU_DEP_3)
	v_add_f64_e64 v[2:3], v[4:5], -v[2:3]
	v_add_f64_e32 v[0:1], v[0:1], v[18:19]
	s_delay_alu instid0(VALU_DEP_3) | instskip(NEXT) | instid1(VALU_DEP_2)
	v_fmac_f64_e32 v[20:21], 0x3c7abc9e3b39803f, v[12:13]
	v_add_f64_e32 v[0:1], v[0:1], v[2:3]
	s_delay_alu instid0(VALU_DEP_2) | instskip(NEXT) | instid1(VALU_DEP_2)
	v_add_f64_e32 v[2:3], v[22:23], v[20:21]
	v_add_f64_e32 v[4:5], v[16:17], v[0:1]
	s_delay_alu instid0(VALU_DEP_2) | instskip(NEXT) | instid1(VALU_DEP_2)
	v_add_f64_e64 v[22:23], v[2:3], -v[22:23]
	v_add_f64_e32 v[12:13], v[2:3], v[4:5]
	v_add_f64_e64 v[16:17], v[4:5], -v[16:17]
	s_delay_alu instid0(VALU_DEP_3) | instskip(NEXT) | instid1(VALU_DEP_3)
	v_add_f64_e64 v[20:21], v[20:21], -v[22:23]
	v_add_f64_e64 v[18:19], v[12:13], -v[2:3]
	s_delay_alu instid0(VALU_DEP_3) | instskip(NEXT) | instid1(VALU_DEP_2)
	v_add_f64_e64 v[0:1], v[0:1], -v[16:17]
	v_add_f64_e64 v[24:25], v[12:13], -v[18:19]
	;; [unrolled: 1-line block ×3, first 2 shown]
	s_delay_alu instid0(VALU_DEP_3) | instskip(NEXT) | instid1(VALU_DEP_3)
	v_add_f64_e32 v[16:17], v[20:21], v[0:1]
	v_add_f64_e64 v[2:3], v[2:3], -v[24:25]
	s_delay_alu instid0(VALU_DEP_1) | instskip(NEXT) | instid1(VALU_DEP_3)
	v_add_f64_e32 v[2:3], v[4:5], v[2:3]
	v_add_f64_e64 v[4:5], v[16:17], -v[20:21]
	s_delay_alu instid0(VALU_DEP_2) | instskip(NEXT) | instid1(VALU_DEP_2)
	v_add_f64_e32 v[2:3], v[16:17], v[2:3]
	v_add_f64_e64 v[16:17], v[16:17], -v[4:5]
	v_add_f64_e64 v[0:1], v[0:1], -v[4:5]
	s_delay_alu instid0(VALU_DEP_3) | instskip(NEXT) | instid1(VALU_DEP_3)
	v_add_f64_e32 v[18:19], v[12:13], v[2:3]
	v_add_f64_e64 v[4:5], v[20:21], -v[16:17]
	s_delay_alu instid0(VALU_DEP_2) | instskip(NEXT) | instid1(VALU_DEP_2)
	v_add_f64_e64 v[12:13], v[18:19], -v[12:13]
	v_add_f64_e32 v[0:1], v[0:1], v[4:5]
	v_mov_b32_e32 v4, 0x3ff00000
	s_delay_alu instid0(VALU_DEP_1) | instskip(SKIP_2) | instid1(VALU_DEP_1)
	v_cndmask_b32_e64 v5, 0xbfeae147, v4, s3
	v_cndmask_b32_e64 v4, 0xae147ae1, 0, s3
	v_add_f64_e64 v[2:3], v[2:3], -v[12:13]
	v_add_f64_e32 v[2:3], v[0:1], v[2:3]
	s_delay_alu instid0(VALU_DEP_1) | instskip(NEXT) | instid1(VALU_DEP_1)
	v_add_f64_e32 v[0:1], v[18:19], v[2:3]
	v_add_f64_e64 v[12:13], v[0:1], -v[18:19]
	v_mul_f64_e32 v[16:17], v[4:5], v[0:1]
	s_delay_alu instid0(VALU_DEP_2) | instskip(NEXT) | instid1(VALU_DEP_2)
	v_add_f64_e64 v[20:21], v[2:3], -v[12:13]
	v_fma_f64 v[2:3], v[4:5], v[0:1], -v[16:17]
	v_cmp_class_f64_e64 vcc_lo, v[16:17], 0x204
	s_delay_alu instid0(VALU_DEP_2) | instskip(NEXT) | instid1(VALU_DEP_1)
	v_fmac_f64_e32 v[2:3], v[4:5], v[20:21]
	v_add_f64_e32 v[12:13], v[16:17], v[2:3]
	s_delay_alu instid0(VALU_DEP_1) | instskip(SKIP_1) | instid1(VALU_DEP_2)
	v_dual_cndmask_b32 v19, v13, v17 :: v_dual_cndmask_b32 v18, v12, v16
	v_add_f64_e64 v[12:13], v[12:13], -v[16:17]
	v_mul_f64_e32 v[22:23], 0x3ff71547652b82fe, v[18:19]
	v_cmp_nlt_f64_e64 s0, 0x40900000, v[18:19]
	v_cmp_neq_f64_e64 vcc_lo, 0x7ff00000, |v[18:19]|
	v_cmp_ngt_f64_e64 s1, 0xc090cc00, v[18:19]
	v_add_f64_e64 v[2:3], v[2:3], -v[12:13]
	v_mul_f64_e32 v[12:13], 0.5, v[4:5]
	v_rndne_f64_e32 v[22:23], v[22:23]
	s_delay_alu instid0(VALU_DEP_3) | instskip(SKIP_1) | instid1(VALU_DEP_2)
	v_dual_cndmask_b32 v3, 0, v3 :: v_dual_cndmask_b32 v2, 0, v2
	s_and_b32 vcc_lo, s1, s0
	v_fmamk_f64 v[24:25], v[22:23], 0xbfe62e42fefa39ef, v[18:19]
	v_cvt_i32_f64_e32 v33, v[22:23]
	v_trunc_f64_e32 v[18:19], v[12:13]
	s_delay_alu instid0(VALU_DEP_3) | instskip(NEXT) | instid1(VALU_DEP_1)
	v_fmac_f64_e32 v[24:25], 0xbc7abc9e3b39803f, v[22:23]
	v_fmamk_f64 v[30:31], v[24:25], 0x3e5ade156a5dcb37, v[30:31]
	s_delay_alu instid0(VALU_DEP_1) | instskip(NEXT) | instid1(VALU_DEP_1)
	v_fmaak_f64 v[30:31], v[24:25], v[30:31], 0x3ec71dee623fde64
	v_fmaak_f64 v[30:31], v[24:25], v[30:31], 0x3efa01997c89e6b0
	s_delay_alu instid0(VALU_DEP_1) | instskip(NEXT) | instid1(VALU_DEP_1)
	v_fmaak_f64 v[30:31], v[24:25], v[30:31], 0x3f2a01a014761f6e
	v_fmaak_f64 v[30:31], v[24:25], v[30:31], 0x3f56c16c1852b7b0
	;; [unrolled: 3-line block ×4, first 2 shown]
	s_delay_alu instid0(VALU_DEP_1) | instskip(NEXT) | instid1(VALU_DEP_1)
	v_fma_f64 v[30:31], v[24:25], v[30:31], 1.0
	v_fma_f64 v[22:23], v[24:25], v[30:31], 1.0
	s_delay_alu instid0(VALU_DEP_1) | instskip(SKIP_1) | instid1(VALU_DEP_2)
	v_ldexp_f64 v[16:17], v[22:23], v33
	v_trunc_f64_e32 v[22:23], v[4:5]
	v_cndmask_b32_e64 v17, 0x7ff00000, v17, s0
	s_delay_alu instid0(VALU_DEP_3) | instskip(SKIP_1) | instid1(VALU_DEP_4)
	v_cndmask_b32_e32 v16, 0, v16, vcc_lo
	v_cmp_neq_f64_e32 vcc_lo, v[18:19], v[12:13]
	v_cmp_eq_f64_e64 s2, v[22:23], v[4:5]
	s_delay_alu instid0(VALU_DEP_4) | instskip(SKIP_1) | instid1(VALU_DEP_2)
	v_cndmask_b32_e64 v17, 0, v17, s1
	v_cmp_eq_f64_e64 s1, 0, v[44:45]
	v_fma_f64 v[2:3], v[16:17], v[2:3], v[16:17]
	v_cmp_class_f64_e64 s0, v[16:17], 0x204
	s_and_b32 vcc_lo, s2, vcc_lo
	v_cndmask_b32_e32 v13, 0x3ff00000, v45, vcc_lo
	v_dual_cndmask_b32 v3, v3, v17, s0 :: v_dual_cndmask_b32 v2, v2, v16, s0
	v_cmp_gt_f64_e64 s0, 0, v[4:5]
	s_delay_alu instid0(VALU_DEP_2) | instskip(NEXT) | instid1(VALU_DEP_3)
	v_bfi_b32 v3, 0x7fffffff, v3, v13
	v_dual_cndmask_b32 v12, 0, v2, s2 :: v_dual_cndmask_b32 v13, 0, v45, vcc_lo
	s_delay_alu instid0(VALU_DEP_2) | instskip(SKIP_2) | instid1(SALU_CYCLE_1)
	v_cndmask_b32_e64 v4, 0x7ff80000, v3, s2
	v_cmp_gt_f64_e64 s2, 0, v[44:45]
	s_xor_b32 s0, s1, s0
	v_cndmask_b32_e64 v5, 0x7ff00000, 0, s0
	s_or_b32 s0, s1, s4
	s_mov_b32 s4, exec_lo
	v_cndmask_b32_e64 v3, v3, v4, s2
	v_cndmask_b32_e64 v2, v2, v12, s2
	v_bfi_b32 v4, 0x7fffffff, v5, v13
	s_delay_alu instid0(VALU_DEP_2) | instskip(NEXT) | instid1(VALU_DEP_2)
	v_cndmask_b32_e64 v2, v2, 0, s0
	v_cndmask_b32_e64 v3, v3, v4, s0
	s_delay_alu instid0(VALU_DEP_1) | instskip(NEXT) | instid1(VALU_DEP_1)
	v_mul_f64_e32 v[50:51], 0x4243ca6512000000, v[2:3]
	v_mul_f64_e32 v[2:3], 0x3ca3e5ba9cd9fbd6, v[50:51]
	s_delay_alu instid0(VALU_DEP_1) | instskip(SKIP_1) | instid1(VALU_DEP_2)
	v_div_scale_f64 v[4:5], null, s[38:39], s[38:39], v[2:3]
	v_div_scale_f64 v[18:19], vcc_lo, v[2:3], s[38:39], v[2:3]
	v_rcp_f64_e32 v[12:13], v[4:5]
	v_nop
	s_delay_alu instid0(TRANS32_DEP_1) | instskip(NEXT) | instid1(VALU_DEP_1)
	v_fma_f64 v[16:17], -v[4:5], v[12:13], 1.0
	v_fmac_f64_e32 v[12:13], v[12:13], v[16:17]
	s_delay_alu instid0(VALU_DEP_1) | instskip(NEXT) | instid1(VALU_DEP_1)
	v_fma_f64 v[16:17], -v[4:5], v[12:13], 1.0
	v_fmac_f64_e32 v[12:13], v[12:13], v[16:17]
	s_delay_alu instid0(VALU_DEP_1) | instskip(NEXT) | instid1(VALU_DEP_1)
	v_mul_f64_e32 v[16:17], v[18:19], v[12:13]
	v_fma_f64 v[4:5], -v[4:5], v[16:17], v[18:19]
	s_delay_alu instid0(VALU_DEP_1) | instskip(NEXT) | instid1(VALU_DEP_1)
	v_div_fmas_f64 v[4:5], v[4:5], v[12:13], v[16:17]
	v_div_fixup_f64 v[2:3], v[4:5], s[38:39], v[2:3]
	s_delay_alu instid0(VALU_DEP_1) | instskip(SKIP_1) | instid1(VALU_DEP_2)
	v_div_scale_f64 v[4:5], null, s[40:41], s[40:41], v[2:3]
	v_div_scale_f64 v[18:19], vcc_lo, v[2:3], s[40:41], v[2:3]
	v_rcp_f64_e32 v[12:13], v[4:5]
	v_nop
	s_delay_alu instid0(TRANS32_DEP_1) | instskip(NEXT) | instid1(VALU_DEP_1)
	v_fma_f64 v[16:17], -v[4:5], v[12:13], 1.0
	v_fmac_f64_e32 v[12:13], v[12:13], v[16:17]
	s_delay_alu instid0(VALU_DEP_1) | instskip(NEXT) | instid1(VALU_DEP_1)
	v_fma_f64 v[16:17], -v[4:5], v[12:13], 1.0
	v_fmac_f64_e32 v[12:13], v[12:13], v[16:17]
	s_delay_alu instid0(VALU_DEP_1) | instskip(NEXT) | instid1(VALU_DEP_1)
	v_mul_f64_e32 v[16:17], v[18:19], v[12:13]
	v_fma_f64 v[4:5], -v[4:5], v[16:17], v[18:19]
	s_delay_alu instid0(VALU_DEP_1) | instskip(NEXT) | instid1(VALU_DEP_1)
	v_div_fmas_f64 v[4:5], v[4:5], v[12:13], v[16:17]
	v_div_fixup_f64 v[2:3], v[4:5], s[40:41], v[2:3]
	s_delay_alu instid0(VALU_DEP_1) | instskip(NEXT) | instid1(VALU_DEP_1)
	v_div_scale_f64 v[4:5], null, s[40:41], s[40:41], v[2:3]
	v_rcp_f64_e32 v[12:13], v[4:5]
	v_nop
	s_delay_alu instid0(TRANS32_DEP_1) | instskip(NEXT) | instid1(VALU_DEP_1)
	v_fma_f64 v[16:17], -v[4:5], v[12:13], 1.0
	v_fmac_f64_e32 v[12:13], v[12:13], v[16:17]
	s_delay_alu instid0(VALU_DEP_1) | instskip(NEXT) | instid1(VALU_DEP_1)
	v_fma_f64 v[16:17], -v[4:5], v[12:13], 1.0
	v_fmac_f64_e32 v[12:13], v[12:13], v[16:17]
	v_div_scale_f64 v[16:17], vcc_lo, v[2:3], s[40:41], v[2:3]
	s_delay_alu instid0(VALU_DEP_1) | instskip(NEXT) | instid1(VALU_DEP_1)
	v_mul_f64_e32 v[18:19], v[16:17], v[12:13]
	v_fma_f64 v[4:5], -v[4:5], v[18:19], v[16:17]
	s_delay_alu instid0(VALU_DEP_1) | instskip(NEXT) | instid1(VALU_DEP_1)
	v_div_fmas_f64 v[4:5], v[4:5], v[12:13], v[18:19]
	v_div_fixup_f64 v[58:59], v[4:5], s[40:41], v[2:3]
	s_delay_alu instid0(VALU_DEP_1)
	v_cmpx_nlt_f64_e32 0x40554000, v[58:59]
	s_xor_b32 s54, exec_lo, s4
	s_cbranch_execz .LBB1_172
; %bb.169:                              ;   in Loop: Header=BB1_79 Depth=1
	v_mov_b64_e32 v[60:61], 0x3ef18354238f6764
	s_mov_b32 s55, exec_lo
	v_cmpx_ngt_f64_e32 s[30:31], v[58:59]
	s_cbranch_execz .LBB1_171
; %bb.170:                              ;   in Loop: Header=BB1_79 Depth=1
	v_div_scale_f64 v[2:3], null, s[30:31], s[30:31], v[58:59]
	v_div_scale_f64 v[16:17], vcc_lo, v[58:59], s[30:31], v[58:59]
	s_delay_alu instid0(VALU_DEP_2) | instskip(SKIP_1) | instid1(TRANS32_DEP_1)
	v_rcp_f64_e32 v[4:5], v[2:3]
	v_nop
	v_fma_f64 v[12:13], -v[2:3], v[4:5], 1.0
	s_delay_alu instid0(VALU_DEP_1) | instskip(NEXT) | instid1(VALU_DEP_1)
	v_fmac_f64_e32 v[4:5], v[4:5], v[12:13]
	v_fma_f64 v[12:13], -v[2:3], v[4:5], 1.0
	s_delay_alu instid0(VALU_DEP_1) | instskip(NEXT) | instid1(VALU_DEP_1)
	v_fmac_f64_e32 v[4:5], v[4:5], v[12:13]
	v_mul_f64_e32 v[12:13], v[16:17], v[4:5]
	s_delay_alu instid0(VALU_DEP_1) | instskip(NEXT) | instid1(VALU_DEP_1)
	v_fma_f64 v[2:3], -v[2:3], v[12:13], v[16:17]
	v_div_fmas_f64 v[2:3], v[2:3], v[4:5], v[12:13]
	s_delay_alu instid0(VALU_DEP_1) | instskip(NEXT) | instid1(VALU_DEP_1)
	v_div_fixup_f64 v[16:17], v[2:3], s[30:31], v[58:59]
	v_frexp_mant_f64_e32 v[2:3], v[16:17]
	s_delay_alu instid0(VALU_DEP_1) | instskip(SKIP_1) | instid1(VALU_DEP_1)
	v_cmp_gt_f64_e32 vcc_lo, s[14:15], v[2:3]
	v_cndmask_b32_e64 v4, 0, 1, vcc_lo
	v_ldexp_f64 v[2:3], v[2:3], v4
	s_delay_alu instid0(VALU_DEP_1) | instskip(SKIP_1) | instid1(VALU_DEP_2)
	v_add_f64_e32 v[4:5], 1.0, v[2:3]
	v_add_f64_e32 v[22:23], -1.0, v[2:3]
	v_rcp_f64_e32 v[12:13], v[4:5]
	v_add_f64_e32 v[24:25], -1.0, v[4:5]
	s_delay_alu instid0(VALU_DEP_1) | instskip(NEXT) | instid1(TRANS32_DEP_1)
	v_add_f64_e64 v[2:3], v[2:3], -v[24:25]
	v_fma_f64 v[18:19], -v[4:5], v[12:13], 1.0
	s_delay_alu instid0(VALU_DEP_1) | instskip(NEXT) | instid1(VALU_DEP_1)
	v_fmac_f64_e32 v[12:13], v[18:19], v[12:13]
	v_fma_f64 v[18:19], -v[4:5], v[12:13], 1.0
	s_delay_alu instid0(VALU_DEP_1) | instskip(NEXT) | instid1(VALU_DEP_1)
	v_fmac_f64_e32 v[12:13], v[18:19], v[12:13]
	v_mul_f64_e32 v[18:19], v[22:23], v[12:13]
	s_delay_alu instid0(VALU_DEP_1) | instskip(NEXT) | instid1(VALU_DEP_1)
	v_mul_f64_e32 v[30:31], v[4:5], v[18:19]
	v_fma_f64 v[4:5], v[18:19], v[4:5], -v[30:31]
	s_delay_alu instid0(VALU_DEP_1) | instskip(NEXT) | instid1(VALU_DEP_1)
	v_fmac_f64_e32 v[4:5], v[18:19], v[2:3]
	v_add_f64_e32 v[2:3], v[30:31], v[4:5]
	s_delay_alu instid0(VALU_DEP_1) | instskip(SKIP_1) | instid1(VALU_DEP_2)
	v_add_f64_e64 v[24:25], v[22:23], -v[2:3]
	v_add_f64_e64 v[30:31], v[2:3], -v[30:31]
	;; [unrolled: 1-line block ×3, first 2 shown]
	s_delay_alu instid0(VALU_DEP_2) | instskip(SKIP_1) | instid1(VALU_DEP_3)
	v_add_f64_e64 v[4:5], v[30:31], -v[4:5]
	v_frexp_exp_i32_f64_e32 v30, v[16:17]
	v_add_f64_e64 v[2:3], v[22:23], -v[2:3]
	v_mov_b64_e32 v[22:23], 0x3fc385386b47b09a
	s_delay_alu instid0(VALU_DEP_2) | instskip(NEXT) | instid1(VALU_DEP_1)
	v_add_f64_e32 v[2:3], v[4:5], v[2:3]
	v_add_f64_e32 v[2:3], v[24:25], v[2:3]
	s_delay_alu instid0(VALU_DEP_1) | instskip(NEXT) | instid1(VALU_DEP_1)
	v_mul_f64_e32 v[2:3], v[12:13], v[2:3]
	v_add_f64_e32 v[4:5], v[18:19], v[2:3]
	s_delay_alu instid0(VALU_DEP_1) | instskip(NEXT) | instid1(VALU_DEP_1)
	v_mul_f64_e32 v[12:13], v[4:5], v[4:5]
	v_fmamk_f64 v[22:23], v[12:13], 0x3fc3ab76bf559e2b, v[22:23]
	v_mul_f64_e32 v[24:25], v[4:5], v[12:13]
	s_delay_alu instid0(VALU_DEP_2) | instskip(NEXT) | instid1(VALU_DEP_1)
	v_fmaak_f64 v[22:23], v[12:13], v[22:23], 0x3fc7474dd7f4df2e
	v_fmaak_f64 v[22:23], v[12:13], v[22:23], 0x3fcc71c016291751
	s_delay_alu instid0(VALU_DEP_1) | instskip(NEXT) | instid1(VALU_DEP_1)
	v_fmaak_f64 v[22:23], v[12:13], v[22:23], 0x3fd249249b27acf1
	v_fmaak_f64 v[22:23], v[12:13], v[22:23], 0x3fd99999998ef7b6
	s_delay_alu instid0(VALU_DEP_1) | instskip(SKIP_2) | instid1(VALU_DEP_3)
	v_fmaak_f64 v[12:13], v[12:13], v[22:23], 0x3fe5555555555780
	v_ldexp_f64 v[22:23], v[4:5], 1
	v_add_f64_e64 v[4:5], v[4:5], -v[18:19]
	v_mul_f64_e32 v[12:13], v[24:25], v[12:13]
	v_subrev_co_ci_u32_e64 v24, null, 0, v30, vcc_lo
	v_cmp_class_f64_e64 vcc_lo, v[16:17], 0x204
	s_delay_alu instid0(VALU_DEP_2) | instskip(SKIP_2) | instid1(VALU_DEP_3)
	v_cvt_f64_i32_e32 v[24:25], v24
	v_add_f64_e64 v[2:3], v[2:3], -v[4:5]
	v_add_f64_e32 v[18:19], v[22:23], v[12:13]
	v_mul_f64_e32 v[30:31], 0x3fe62e42fefa39ef, v[24:25]
	s_delay_alu instid0(VALU_DEP_3) | instskip(NEXT) | instid1(VALU_DEP_3)
	v_ldexp_f64 v[2:3], v[2:3], 1
	v_add_f64_e64 v[4:5], v[18:19], -v[22:23]
	s_delay_alu instid0(VALU_DEP_3) | instskip(NEXT) | instid1(VALU_DEP_2)
	v_fma_f64 v[22:23], v[24:25], s[16:17], -v[30:31]
	v_add_f64_e64 v[4:5], v[12:13], -v[4:5]
	s_delay_alu instid0(VALU_DEP_2) | instskip(NEXT) | instid1(VALU_DEP_2)
	v_fmac_f64_e32 v[22:23], 0x3c7abc9e3b39803f, v[24:25]
	v_add_f64_e32 v[2:3], v[2:3], v[4:5]
	s_delay_alu instid0(VALU_DEP_2) | instskip(NEXT) | instid1(VALU_DEP_2)
	v_add_f64_e32 v[4:5], v[30:31], v[22:23]
	v_add_f64_e32 v[12:13], v[18:19], v[2:3]
	s_delay_alu instid0(VALU_DEP_2) | instskip(NEXT) | instid1(VALU_DEP_2)
	v_add_f64_e64 v[30:31], v[4:5], -v[30:31]
	v_add_f64_e32 v[24:25], v[4:5], v[12:13]
	v_add_f64_e64 v[18:19], v[12:13], -v[18:19]
	s_delay_alu instid0(VALU_DEP_3) | instskip(NEXT) | instid1(VALU_DEP_3)
	v_add_f64_e64 v[22:23], v[22:23], -v[30:31]
	v_add_f64_e64 v[44:45], v[24:25], -v[4:5]
	s_delay_alu instid0(VALU_DEP_3) | instskip(NEXT) | instid1(VALU_DEP_2)
	v_add_f64_e64 v[2:3], v[2:3], -v[18:19]
	v_add_f64_e64 v[60:61], v[24:25], -v[44:45]
	;; [unrolled: 1-line block ×3, first 2 shown]
	s_delay_alu instid0(VALU_DEP_3) | instskip(NEXT) | instid1(VALU_DEP_3)
	v_add_f64_e32 v[18:19], v[22:23], v[2:3]
	v_add_f64_e64 v[4:5], v[4:5], -v[60:61]
	s_delay_alu instid0(VALU_DEP_1) | instskip(NEXT) | instid1(VALU_DEP_3)
	v_add_f64_e32 v[4:5], v[12:13], v[4:5]
	v_add_f64_e64 v[12:13], v[18:19], -v[22:23]
	s_delay_alu instid0(VALU_DEP_2) | instskip(NEXT) | instid1(VALU_DEP_2)
	v_add_f64_e32 v[4:5], v[18:19], v[4:5]
	v_add_f64_e64 v[18:19], v[18:19], -v[12:13]
	v_add_f64_e64 v[2:3], v[2:3], -v[12:13]
	s_delay_alu instid0(VALU_DEP_3) | instskip(NEXT) | instid1(VALU_DEP_3)
	v_add_f64_e32 v[30:31], v[24:25], v[4:5]
	v_add_f64_e64 v[12:13], v[22:23], -v[18:19]
	s_delay_alu instid0(VALU_DEP_2) | instskip(NEXT) | instid1(VALU_DEP_2)
	v_add_f64_e64 v[18:19], v[30:31], -v[24:25]
	v_add_f64_e32 v[2:3], v[2:3], v[12:13]
	s_delay_alu instid0(VALU_DEP_2) | instskip(NEXT) | instid1(VALU_DEP_1)
	v_add_f64_e64 v[4:5], v[4:5], -v[18:19]
	v_add_f64_e32 v[2:3], v[2:3], v[4:5]
	s_delay_alu instid0(VALU_DEP_1) | instskip(NEXT) | instid1(VALU_DEP_1)
	v_add_f64_e32 v[2:3], v[30:31], v[2:3]
	v_dual_cndmask_b32 v3, v3, v17 :: v_dual_cndmask_b32 v2, v2, v16
	s_delay_alu instid0(VALU_DEP_1) | instskip(SKIP_1) | instid1(VALU_DEP_2)
	v_div_scale_f64 v[4:5], null, s[42:43], s[42:43], v[2:3]
	v_div_scale_f64 v[22:23], vcc_lo, v[2:3], s[42:43], v[2:3]
	v_rcp_f64_e32 v[12:13], v[4:5]
	v_nop
	s_delay_alu instid0(TRANS32_DEP_1) | instskip(NEXT) | instid1(VALU_DEP_1)
	v_fma_f64 v[18:19], -v[4:5], v[12:13], 1.0
	v_fmac_f64_e32 v[12:13], v[12:13], v[18:19]
	s_delay_alu instid0(VALU_DEP_1) | instskip(NEXT) | instid1(VALU_DEP_1)
	v_fma_f64 v[18:19], -v[4:5], v[12:13], 1.0
	v_fmac_f64_e32 v[12:13], v[12:13], v[18:19]
	s_delay_alu instid0(VALU_DEP_1) | instskip(NEXT) | instid1(VALU_DEP_1)
	v_mul_f64_e32 v[18:19], v[22:23], v[12:13]
	v_fma_f64 v[4:5], -v[4:5], v[18:19], v[22:23]
	s_delay_alu instid0(VALU_DEP_1) | instskip(SKIP_1) | instid1(VALU_DEP_2)
	v_div_fmas_f64 v[4:5], v[4:5], v[12:13], v[18:19]
	v_cmp_neq_f64_e32 vcc_lo, 0, v[16:17]
	v_div_fixup_f64 v[2:3], v[4:5], s[42:43], v[2:3]
	s_delay_alu instid0(VALU_DEP_1) | instskip(NEXT) | instid1(VALU_DEP_1)
	v_mul_f64_e32 v[2:3], 0x40490000, v[2:3]
	v_cndmask_b32_e32 v3, 0xfff00000, v3, vcc_lo
	s_delay_alu instid0(VALU_DEP_2) | instskip(NEXT) | instid1(VALU_DEP_1)
	v_cndmask_b32_e32 v2, 0, v2, vcc_lo
	v_floor_f64_e32 v[4:5], v[2:3]
	s_delay_alu instid0(VALU_DEP_1) | instskip(NEXT) | instid1(VALU_DEP_1)
	v_cvt_i32_f64_e32 v4, v[4:5]
	v_ashrrev_i32_e32 v5, 31, v4
	s_delay_alu instid0(VALU_DEP_1) | instskip(SKIP_3) | instid1(VALU_DEP_1)
	v_lshl_add_u64 v[12:13], v[4:5], 3, s[56:57]
	v_cvt_f64_i32_e32 v[4:5], v4
	global_load_b128 v[16:19], v[12:13], off
	v_add_f64_e64 v[2:3], v[2:3], -v[4:5]
	v_add_f64_e64 v[4:5], -v[2:3], 1.0
	s_wait_loadcnt 0x0
	v_mul_f64_e32 v[2:3], v[2:3], v[18:19]
	s_delay_alu instid0(VALU_DEP_1) | instskip(SKIP_1) | instid1(VALU_DEP_2)
	v_fmac_f64_e32 v[2:3], v[4:5], v[16:17]
	v_mov_b64_e32 v[16:17], 0x3e928af3fca7ab0c
	v_mul_f64_e32 v[4:5], 0x3ff71547652b82fe, v[2:3]
	v_cmp_nlt_f64_e32 vcc_lo, 0x40900000, v[2:3]
	v_cmp_ngt_f64_e64 s4, 0xc090cc00, v[2:3]
	s_delay_alu instid0(VALU_DEP_3) | instskip(SKIP_1) | instid1(VALU_DEP_1)
	v_rndne_f64_e32 v[4:5], v[4:5]
	s_wait_xcnt 0x0
	v_fmamk_f64 v[12:13], v[4:5], 0xbfe62e42fefa39ef, v[2:3]
	v_cvt_i32_f64_e32 v18, v[4:5]
	s_delay_alu instid0(VALU_DEP_2) | instskip(NEXT) | instid1(VALU_DEP_1)
	v_fmac_f64_e32 v[12:13], 0xbc7abc9e3b39803f, v[4:5]
	v_fmamk_f64 v[16:17], v[12:13], 0x3e5ade156a5dcb37, v[16:17]
	s_delay_alu instid0(VALU_DEP_1) | instskip(NEXT) | instid1(VALU_DEP_1)
	v_fmaak_f64 v[16:17], v[12:13], v[16:17], 0x3ec71dee623fde64
	v_fmaak_f64 v[16:17], v[12:13], v[16:17], 0x3efa01997c89e6b0
	s_delay_alu instid0(VALU_DEP_1) | instskip(NEXT) | instid1(VALU_DEP_1)
	v_fmaak_f64 v[16:17], v[12:13], v[16:17], 0x3f2a01a014761f6e
	v_fmaak_f64 v[16:17], v[12:13], v[16:17], 0x3f56c16c1852b7b0
	;; [unrolled: 3-line block ×4, first 2 shown]
	s_delay_alu instid0(VALU_DEP_1) | instskip(NEXT) | instid1(VALU_DEP_1)
	v_fma_f64 v[16:17], v[12:13], v[16:17], 1.0
	v_fma_f64 v[4:5], v[12:13], v[16:17], 1.0
	s_delay_alu instid0(VALU_DEP_1) | instskip(NEXT) | instid1(VALU_DEP_1)
	v_ldexp_f64 v[4:5], v[4:5], v18
	v_cndmask_b32_e32 v5, 0x7ff00000, v5, vcc_lo
	s_and_b32 vcc_lo, s4, vcc_lo
	s_delay_alu instid0(VALU_DEP_1) | instid1(SALU_CYCLE_1)
	v_dual_cndmask_b32 v60, 0, v4, vcc_lo :: v_dual_cndmask_b32 v61, 0, v5, s4
.LBB1_171:                              ;   in Loop: Header=BB1_79 Depth=1
	s_or_b32 exec_lo, exec_lo, s55
.LBB1_172:                              ;   in Loop: Header=BB1_79 Depth=1
	s_and_not1_saveexec_b32 s4, s54
	s_cbranch_execz .LBB1_77
; %bb.173:                              ;   in Loop: Header=BB1_79 Depth=1
	v_add_f64_e32 v[2:3], v[58:59], v[58:59]
	s_delay_alu instid0(VALU_DEP_1)
	v_mul_f64_e32 v[60:61], v[58:59], v[2:3]
	s_branch .LBB1_77
.LBB1_174:
	s_or_b32 exec_lo, exec_lo, s5
	v_mul_f64_e64 v[0:1], s[6:7], 0.5
	s_mov_b64 s[0:1], 0x3df0a49b7b2969f6
	s_delay_alu instid0(VALU_DEP_1) | instid1(SALU_CYCLE_1)
	v_div_scale_f64 v[2:3], null, v[0:1], v[0:1], s[0:1]
	v_div_scale_f64 v[8:9], vcc_lo, s[0:1], v[0:1], s[0:1]
	s_delay_alu instid0(VALU_DEP_2) | instskip(SKIP_1) | instid1(TRANS32_DEP_1)
	v_rcp_f64_e32 v[4:5], v[2:3]
	v_nop
	v_fma_f64 v[6:7], -v[2:3], v[4:5], 1.0
	s_delay_alu instid0(VALU_DEP_1) | instskip(NEXT) | instid1(VALU_DEP_1)
	v_fmac_f64_e32 v[4:5], v[4:5], v[6:7]
	v_fma_f64 v[6:7], -v[2:3], v[4:5], 1.0
	s_delay_alu instid0(VALU_DEP_1) | instskip(NEXT) | instid1(VALU_DEP_1)
	v_fmac_f64_e32 v[4:5], v[4:5], v[6:7]
	v_mul_f64_e32 v[6:7], v[8:9], v[4:5]
	s_delay_alu instid0(VALU_DEP_1) | instskip(NEXT) | instid1(VALU_DEP_1)
	v_fma_f64 v[2:3], -v[2:3], v[6:7], v[8:9]
	v_div_fmas_f64 v[2:3], v[2:3], v[4:5], v[6:7]
	s_delay_alu instid0(VALU_DEP_1) | instskip(NEXT) | instid1(VALU_DEP_1)
	v_div_fixup_f64 v[2:3], v[2:3], v[0:1], s[0:1]
	v_mul_f64_e32 v[2:3], 0x3df0a49b7b2969f6, v[2:3]
	s_delay_alu instid0(VALU_DEP_1) | instskip(SKIP_1) | instid1(VALU_DEP_2)
	v_div_scale_f64 v[4:5], null, v[0:1], v[0:1], v[2:3]
	v_div_scale_f64 v[10:11], vcc_lo, v[2:3], v[0:1], v[2:3]
	v_rcp_f64_e32 v[6:7], v[4:5]
	v_nop
	s_delay_alu instid0(TRANS32_DEP_1) | instskip(NEXT) | instid1(VALU_DEP_1)
	v_fma_f64 v[8:9], -v[4:5], v[6:7], 1.0
	v_fmac_f64_e32 v[6:7], v[6:7], v[8:9]
	s_delay_alu instid0(VALU_DEP_1) | instskip(NEXT) | instid1(VALU_DEP_1)
	v_fma_f64 v[8:9], -v[4:5], v[6:7], 1.0
	v_fmac_f64_e32 v[6:7], v[6:7], v[8:9]
	s_delay_alu instid0(VALU_DEP_1) | instskip(NEXT) | instid1(VALU_DEP_1)
	v_mul_f64_e32 v[8:9], v[10:11], v[6:7]
	v_fma_f64 v[4:5], -v[4:5], v[8:9], v[10:11]
	s_delay_alu instid0(VALU_DEP_1) | instskip(NEXT) | instid1(VALU_DEP_1)
	v_div_fmas_f64 v[4:5], v[4:5], v[6:7], v[8:9]
	v_div_fixup_f64 v[0:1], v[4:5], v[0:1], v[2:3]
	scratch_load_b64 v[2:3], off, off offset:176 th:TH_LOAD_LU ; 8-byte Folded Reload
	v_mul_f64_e32 v[0:1], 0x449637f10208d29e, v[0:1]
	s_delay_alu instid0(VALU_DEP_1) | instskip(NEXT) | instid1(VALU_DEP_1)
	v_mul_f64_e32 v[0:1], 0x449637f10208d29e, v[0:1]
	v_mul_f64_e32 v[0:1], 4.0, v[0:1]
	s_delay_alu instid0(VALU_DEP_1) | instskip(NEXT) | instid1(VALU_DEP_1)
	v_mul_f64_e32 v[0:1], 0x400921fb53c8d4f1, v[0:1]
	v_mul_f64_e32 v[0:1], s[12:13], v[0:1]
	s_wait_loadcnt 0x0
	v_mul_f64_e32 v[2:3], s[12:13], v[2:3]
	s_delay_alu instid0(VALU_DEP_1) | instskip(NEXT) | instid1(VALU_DEP_1)
	v_mul_f64_e32 v[2:3], s[12:13], v[2:3]
	v_mul_f64_e32 v[2:3], s[12:13], v[2:3]
	s_delay_alu instid0(VALU_DEP_1)
	v_mul_f64_e32 v[0:1], v[0:1], v[2:3]
	scratch_load_b32 v2, off, off offset:232 th:TH_LOAD_LU ; 4-byte Folded Reload
	s_wait_loadcnt 0x0
	v_add_nc_u32_e32 v2, 2, v2
	global_store_b64 v2, v[0:1], s[10:11] scale_offset
.LBB1_175:
	s_sendmsg sendmsg(MSG_DEALLOC_VGPRS)
	s_endpgm
	.section	.rodata,"a",@progbits
	.p2align	6, 0x0
	.amdhsa_kernel _Z5task2PdS_ii
		.amdhsa_group_segment_fixed_size 0
		.amdhsa_private_segment_fixed_size 240
		.amdhsa_kernarg_size 280
		.amdhsa_user_sgpr_count 2
		.amdhsa_user_sgpr_dispatch_ptr 0
		.amdhsa_user_sgpr_queue_ptr 0
		.amdhsa_user_sgpr_kernarg_segment_ptr 1
		.amdhsa_user_sgpr_dispatch_id 0
		.amdhsa_user_sgpr_kernarg_preload_length 0
		.amdhsa_user_sgpr_kernarg_preload_offset 0
		.amdhsa_user_sgpr_private_segment_size 0
		.amdhsa_wavefront_size32 1
		.amdhsa_uses_dynamic_stack 0
		.amdhsa_enable_private_segment 1
		.amdhsa_system_sgpr_workgroup_id_x 1
		.amdhsa_system_sgpr_workgroup_id_y 1
		.amdhsa_system_sgpr_workgroup_id_z 0
		.amdhsa_system_sgpr_workgroup_info 0
		.amdhsa_system_vgpr_workitem_id 1
		.amdhsa_next_free_vgpr 128
		.amdhsa_next_free_sgpr 58
		.amdhsa_named_barrier_count 0
		.amdhsa_reserve_vcc 1
		.amdhsa_float_round_mode_32 0
		.amdhsa_float_round_mode_16_64 0
		.amdhsa_float_denorm_mode_32 3
		.amdhsa_float_denorm_mode_16_64 3
		.amdhsa_fp16_overflow 0
		.amdhsa_memory_ordered 1
		.amdhsa_forward_progress 1
		.amdhsa_inst_pref_size 255
		.amdhsa_round_robin_scheduling 0
		.amdhsa_exception_fp_ieee_invalid_op 0
		.amdhsa_exception_fp_denorm_src 0
		.amdhsa_exception_fp_ieee_div_zero 0
		.amdhsa_exception_fp_ieee_overflow 0
		.amdhsa_exception_fp_ieee_underflow 0
		.amdhsa_exception_fp_ieee_inexact 0
		.amdhsa_exception_int_div_zero 0
	.end_amdhsa_kernel
	.text
.Lfunc_end1:
	.size	_Z5task2PdS_ii, .Lfunc_end1-_Z5task2PdS_ii
                                        ; -- End function
	.set _Z5task2PdS_ii.num_vgpr, 128
	.set _Z5task2PdS_ii.num_agpr, 0
	.set _Z5task2PdS_ii.numbered_sgpr, 58
	.set _Z5task2PdS_ii.num_named_barrier, 0
	.set _Z5task2PdS_ii.private_seg_size, 240
	.set _Z5task2PdS_ii.uses_vcc, 1
	.set _Z5task2PdS_ii.uses_flat_scratch, 1
	.set _Z5task2PdS_ii.has_dyn_sized_stack, 0
	.set _Z5task2PdS_ii.has_recursion, 0
	.set _Z5task2PdS_ii.has_indirect_call, 0
	.section	.AMDGPU.csdata,"",@progbits
; Kernel info:
; codeLenInByte = 71808
; TotalNumSgprs: 60
; NumVgprs: 128
; ScratchSize: 240
; MemoryBound: 0
; FloatMode: 240
; IeeeMode: 1
; LDSByteSize: 0 bytes/workgroup (compile time only)
; SGPRBlocks: 0
; VGPRBlocks: 7
; NumSGPRsForWavesPerEU: 60
; NumVGPRsForWavesPerEU: 128
; NamedBarCnt: 0
; Occupancy: 8
; WaveLimiterHint : 0
; COMPUTE_PGM_RSRC2:SCRATCH_EN: 1
; COMPUTE_PGM_RSRC2:USER_SGPR: 2
; COMPUTE_PGM_RSRC2:TRAP_HANDLER: 0
; COMPUTE_PGM_RSRC2:TGID_X_EN: 1
; COMPUTE_PGM_RSRC2:TGID_Y_EN: 1
; COMPUTE_PGM_RSRC2:TGID_Z_EN: 0
; COMPUTE_PGM_RSRC2:TIDIG_COMP_CNT: 1
	.text
	.p2alignl 7, 3214868480
	.fill 96, 4, 3214868480
	.section	.AMDGPU.gpr_maximums,"",@progbits
	.set amdgpu.max_num_vgpr, 0
	.set amdgpu.max_num_agpr, 0
	.set amdgpu.max_num_sgpr, 0
	.text
	.type	_ZL6K2_tab,@object              ; @_ZL6K2_tab
	.section	.rodata,"a",@progbits
	.p2align	4, 0x0
_ZL6K2_tab:
	.quad	0xc0257e76ea422899              ; double -10.747000999999999
	.quad	0xc022b9a2a4db163c              ; double -9.3625690000000005
	;; [unrolled: 1-line block ×16, first 2 shown]
	.quad	0x3fd0ead0c3d25248              ; double 0.26433200000000001
	.quad	0x3fe301797cc39ffd              ; double 0.59392999999999996
	.quad	0x3fed3300de4c5111              ; double 0.91247599999999995
	.quad	0x3ff38db6a1e81cb4              ; double 1.2220979999999999
	.quad	0x3ff8649906cca2db              ; double 1.5245599999999999
	.quad	0x3ffd241700cd8559              ; double 1.8213109999999999
	.quad	0x4000e886162f166e              ; double 2.113537
	.quad	0x400337b0f6ad70e7              ; double 2.402193
	.quad	0x400581205bc01a37              ; double 2.6880500000000001
	.quad	0x4007c615a8deb0fb              ; double 2.9717210000000001
	.quad	0x400a078fabda0dfe              ; double 3.253692
	.quad	0x400c4657b84db9c7              ; double 3.5343469999999999
	.quad	0x400e830a0b1bbcf5              ; double 3.813984
	.quad	0x40105f112fd32c62              ; double 4.0928389999999997
	.quad	0x40117bff8a8f3a9b              ; double 4.371092
	.quad	0x401298750c1b9735              ; double 4.6488839999999998
	.quad	0x4013b48e043a2164              ; double 4.926323
	.quad	0x4014d060780fdc16              ; double 5.2034929999999999
	.quad	0x4015ebfceb78897f              ; double 5.4804570000000004
	.quad	0x4017077036c9c0a9              ; double 5.7572640000000002
	.quad	0x401822c450268901              ; double 6.0339520000000002
	.quad	0x40193e00d1b71759              ; double 6.3105500000000001
	.quad	0x401a592af9a8cdea              ; double 6.587078
	.quad	0x401b74477ff151e7              ; double 6.8635539999999997
	.quad	0x401c8f5989df1173              ; double 7.1399900000000001
	.quad	0x401daa63736cdf26              ; double 7.4163949999999996
	.quad	0x401ec56798958d9b              ; double 7.6927779999999996
	.quad	0x401fe06705c896dd              ; double 7.9691429999999998
	.quad	0x40207db18548a9bd              ; double 8.245495
	.quad	0x40210b2e3821af7d              ; double 8.5218369999999997
	.quad	0x402198a9de8b3b32              ; double 8.798171
	.quad	0x40222624dd2f1aa0              ; double 9.0745000000000005
	.quad	0x4022b39f340d4dc6              ; double 9.3508239999999994
	.quad	0x4023411904b3c3e7              ; double 9.6271439999999994
	.size	_ZL6K2_tab, 400

	.type	__hip_cuid_58d69a6935cd95b1,@object ; @__hip_cuid_58d69a6935cd95b1
	.section	.bss,"aw",@nobits
	.globl	__hip_cuid_58d69a6935cd95b1
__hip_cuid_58d69a6935cd95b1:
	.byte	0                               ; 0x0
	.size	__hip_cuid_58d69a6935cd95b1, 1

	.ident	"AMD clang version 22.0.0git (https://github.com/RadeonOpenCompute/llvm-project roc-7.2.4 26084 f58b06dce1f9c15707c5f808fd002e18c2accf7e)"
	.section	".note.GNU-stack","",@progbits
	.addrsig
	.addrsig_sym __hip_cuid_58d69a6935cd95b1
	.amdgpu_metadata
---
amdhsa.kernels:
  - .args:
      - .actual_access:  write_only
        .address_space:  global
        .offset:         0
        .size:           8
        .value_kind:     global_buffer
      - .actual_access:  read_only
        .address_space:  global
        .offset:         8
        .size:           8
        .value_kind:     global_buffer
      - .offset:         16
        .size:           4
        .value_kind:     by_value
      - .offset:         20
        .size:           4
        .value_kind:     by_value
      - .offset:         24
        .size:           4
        .value_kind:     hidden_block_count_x
      - .offset:         28
        .size:           4
        .value_kind:     hidden_block_count_y
      - .offset:         32
        .size:           4
        .value_kind:     hidden_block_count_z
      - .offset:         36
        .size:           2
        .value_kind:     hidden_group_size_x
      - .offset:         38
        .size:           2
        .value_kind:     hidden_group_size_y
      - .offset:         40
        .size:           2
        .value_kind:     hidden_group_size_z
      - .offset:         42
        .size:           2
        .value_kind:     hidden_remainder_x
      - .offset:         44
        .size:           2
        .value_kind:     hidden_remainder_y
      - .offset:         46
        .size:           2
        .value_kind:     hidden_remainder_z
      - .offset:         64
        .size:           8
        .value_kind:     hidden_global_offset_x
      - .offset:         72
        .size:           8
        .value_kind:     hidden_global_offset_y
      - .offset:         80
        .size:           8
        .value_kind:     hidden_global_offset_z
      - .offset:         88
        .size:           2
        .value_kind:     hidden_grid_dims
    .group_segment_fixed_size: 0
    .kernarg_segment_align: 8
    .kernarg_segment_size: 280
    .language:       OpenCL C
    .language_version:
      - 2
      - 0
    .max_flat_workgroup_size: 1024
    .name:           _Z5task1PdS_ii
    .private_segment_fixed_size: 180
    .sgpr_count:     27
    .sgpr_spill_count: 0
    .symbol:         _Z5task1PdS_ii.kd
    .uniform_work_group_size: 1
    .uses_dynamic_stack: false
    .vgpr_count:     128
    .vgpr_spill_count: 48
    .wavefront_size: 32
  - .args:
      - .actual_access:  write_only
        .address_space:  global
        .offset:         0
        .size:           8
        .value_kind:     global_buffer
      - .actual_access:  read_only
        .address_space:  global
        .offset:         8
        .size:           8
        .value_kind:     global_buffer
      - .offset:         16
        .size:           4
        .value_kind:     by_value
      - .offset:         20
        .size:           4
        .value_kind:     by_value
      - .offset:         24
        .size:           4
        .value_kind:     hidden_block_count_x
      - .offset:         28
        .size:           4
        .value_kind:     hidden_block_count_y
      - .offset:         32
        .size:           4
        .value_kind:     hidden_block_count_z
      - .offset:         36
        .size:           2
        .value_kind:     hidden_group_size_x
      - .offset:         38
        .size:           2
        .value_kind:     hidden_group_size_y
      - .offset:         40
        .size:           2
        .value_kind:     hidden_group_size_z
      - .offset:         42
        .size:           2
        .value_kind:     hidden_remainder_x
      - .offset:         44
        .size:           2
        .value_kind:     hidden_remainder_y
      - .offset:         46
        .size:           2
        .value_kind:     hidden_remainder_z
      - .offset:         64
        .size:           8
        .value_kind:     hidden_global_offset_x
      - .offset:         72
        .size:           8
        .value_kind:     hidden_global_offset_y
      - .offset:         80
        .size:           8
        .value_kind:     hidden_global_offset_z
      - .offset:         88
        .size:           2
        .value_kind:     hidden_grid_dims
    .group_segment_fixed_size: 0
    .kernarg_segment_align: 8
    .kernarg_segment_size: 280
    .language:       OpenCL C
    .language_version:
      - 2
      - 0
    .max_flat_workgroup_size: 1024
    .name:           _Z5task2PdS_ii
    .private_segment_fixed_size: 240
    .sgpr_count:     60
    .sgpr_spill_count: 0
    .symbol:         _Z5task2PdS_ii.kd
    .uniform_work_group_size: 1
    .uses_dynamic_stack: false
    .vgpr_count:     128
    .vgpr_spill_count: 67
    .wavefront_size: 32
amdhsa.target:   amdgcn-amd-amdhsa--gfx1250
amdhsa.version:
  - 1
  - 2
...

	.end_amdgpu_metadata
